;; amdgpu-corpus repo=ROCm/rocFFT kind=compiled arch=gfx906 opt=O3
	.text
	.amdgcn_target "amdgcn-amd-amdhsa--gfx906"
	.amdhsa_code_object_version 6
	.protected	fft_rtc_fwd_len2016_factors_2_2_2_2_2_3_3_7_wgs_224_tpt_112_halfLds_sp_op_CI_CI_unitstride_sbrr_dirReg ; -- Begin function fft_rtc_fwd_len2016_factors_2_2_2_2_2_3_3_7_wgs_224_tpt_112_halfLds_sp_op_CI_CI_unitstride_sbrr_dirReg
	.globl	fft_rtc_fwd_len2016_factors_2_2_2_2_2_3_3_7_wgs_224_tpt_112_halfLds_sp_op_CI_CI_unitstride_sbrr_dirReg
	.p2align	8
	.type	fft_rtc_fwd_len2016_factors_2_2_2_2_2_3_3_7_wgs_224_tpt_112_halfLds_sp_op_CI_CI_unitstride_sbrr_dirReg,@function
fft_rtc_fwd_len2016_factors_2_2_2_2_2_3_3_7_wgs_224_tpt_112_halfLds_sp_op_CI_CI_unitstride_sbrr_dirReg: ; @fft_rtc_fwd_len2016_factors_2_2_2_2_2_3_3_7_wgs_224_tpt_112_halfLds_sp_op_CI_CI_unitstride_sbrr_dirReg
; %bb.0:
	s_load_dwordx4 s[12:15], s[4:5], 0x58
	s_load_dwordx4 s[8:11], s[4:5], 0x0
	;; [unrolled: 1-line block ×3, first 2 shown]
	v_mul_u32_u24_e32 v1, 0x24a, v0
	v_lshrrev_b32_e32 v43, 16, v1
	v_mov_b32_e32 v7, 0
	s_waitcnt lgkmcnt(0)
	v_cmp_lt_u64_e64 s[0:1], s[10:11], 2
	v_mov_b32_e32 v5, 0
	v_lshl_add_u32 v9, s6, 1, v43
	v_mov_b32_e32 v10, v7
	s_and_b64 vcc, exec, s[0:1]
	v_mov_b32_e32 v6, 0
	s_cbranch_vccnz .LBB0_8
; %bb.1:
	s_load_dwordx2 s[0:1], s[4:5], 0x10
	s_add_u32 s2, s18, 8
	s_addc_u32 s3, s19, 0
	s_add_u32 s6, s16, 8
	s_addc_u32 s7, s17, 0
	v_mov_b32_e32 v5, 0
	s_waitcnt lgkmcnt(0)
	s_add_u32 s20, s0, 8
	v_mov_b32_e32 v6, 0
	v_mov_b32_e32 v1, v5
	s_addc_u32 s21, s1, 0
	s_mov_b64 s[22:23], 1
	v_mov_b32_e32 v2, v6
.LBB0_2:                                ; =>This Inner Loop Header: Depth=1
	s_load_dwordx2 s[24:25], s[20:21], 0x0
                                        ; implicit-def: $vgpr3_vgpr4
	s_waitcnt lgkmcnt(0)
	v_or_b32_e32 v8, s25, v10
	v_cmp_ne_u64_e32 vcc, 0, v[7:8]
	s_and_saveexec_b64 s[0:1], vcc
	s_xor_b64 s[26:27], exec, s[0:1]
	s_cbranch_execz .LBB0_4
; %bb.3:                                ;   in Loop: Header=BB0_2 Depth=1
	v_cvt_f32_u32_e32 v3, s24
	v_cvt_f32_u32_e32 v4, s25
	s_sub_u32 s0, 0, s24
	s_subb_u32 s1, 0, s25
	v_mac_f32_e32 v3, 0x4f800000, v4
	v_rcp_f32_e32 v3, v3
	v_mul_f32_e32 v3, 0x5f7ffffc, v3
	v_mul_f32_e32 v4, 0x2f800000, v3
	v_trunc_f32_e32 v4, v4
	v_mac_f32_e32 v3, 0xcf800000, v4
	v_cvt_u32_f32_e32 v4, v4
	v_cvt_u32_f32_e32 v3, v3
	v_mul_lo_u32 v8, s0, v4
	v_mul_hi_u32 v11, s0, v3
	v_mul_lo_u32 v13, s1, v3
	v_mul_lo_u32 v12, s0, v3
	v_add_u32_e32 v8, v11, v8
	v_add_u32_e32 v8, v8, v13
	v_mul_hi_u32 v11, v3, v12
	v_mul_lo_u32 v13, v3, v8
	v_mul_hi_u32 v15, v3, v8
	v_mul_hi_u32 v14, v4, v12
	v_mul_lo_u32 v12, v4, v12
	v_mul_hi_u32 v16, v4, v8
	v_add_co_u32_e32 v11, vcc, v11, v13
	v_addc_co_u32_e32 v13, vcc, 0, v15, vcc
	v_mul_lo_u32 v8, v4, v8
	v_add_co_u32_e32 v11, vcc, v11, v12
	v_addc_co_u32_e32 v11, vcc, v13, v14, vcc
	v_addc_co_u32_e32 v12, vcc, 0, v16, vcc
	v_add_co_u32_e32 v8, vcc, v11, v8
	v_addc_co_u32_e32 v11, vcc, 0, v12, vcc
	v_add_co_u32_e32 v3, vcc, v3, v8
	v_addc_co_u32_e32 v4, vcc, v4, v11, vcc
	v_mul_lo_u32 v8, s0, v4
	v_mul_hi_u32 v11, s0, v3
	v_mul_lo_u32 v12, s1, v3
	v_mul_lo_u32 v13, s0, v3
	v_add_u32_e32 v8, v11, v8
	v_add_u32_e32 v8, v8, v12
	v_mul_lo_u32 v14, v3, v8
	v_mul_hi_u32 v15, v3, v13
	v_mul_hi_u32 v16, v3, v8
	;; [unrolled: 1-line block ×3, first 2 shown]
	v_mul_lo_u32 v13, v4, v13
	v_mul_hi_u32 v11, v4, v8
	v_add_co_u32_e32 v14, vcc, v15, v14
	v_addc_co_u32_e32 v15, vcc, 0, v16, vcc
	v_mul_lo_u32 v8, v4, v8
	v_add_co_u32_e32 v13, vcc, v14, v13
	v_addc_co_u32_e32 v12, vcc, v15, v12, vcc
	v_addc_co_u32_e32 v11, vcc, 0, v11, vcc
	v_add_co_u32_e32 v8, vcc, v12, v8
	v_addc_co_u32_e32 v11, vcc, 0, v11, vcc
	v_add_co_u32_e32 v8, vcc, v3, v8
	v_addc_co_u32_e32 v11, vcc, v4, v11, vcc
	v_mad_u64_u32 v[3:4], s[0:1], v9, v11, 0
	v_mul_hi_u32 v12, v9, v8
	v_add_co_u32_e32 v13, vcc, v12, v3
	v_addc_co_u32_e32 v14, vcc, 0, v4, vcc
	v_mad_u64_u32 v[3:4], s[0:1], v10, v8, 0
	v_mad_u64_u32 v[11:12], s[0:1], v10, v11, 0
	v_add_co_u32_e32 v3, vcc, v13, v3
	v_addc_co_u32_e32 v3, vcc, v14, v4, vcc
	v_addc_co_u32_e32 v4, vcc, 0, v12, vcc
	v_add_co_u32_e32 v8, vcc, v3, v11
	v_addc_co_u32_e32 v11, vcc, 0, v4, vcc
	v_mul_lo_u32 v12, s25, v8
	v_mul_lo_u32 v13, s24, v11
	v_mad_u64_u32 v[3:4], s[0:1], s24, v8, 0
	v_add3_u32 v4, v4, v13, v12
	v_sub_u32_e32 v12, v10, v4
	v_mov_b32_e32 v13, s25
	v_sub_co_u32_e32 v3, vcc, v9, v3
	v_subb_co_u32_e64 v12, s[0:1], v12, v13, vcc
	v_subrev_co_u32_e64 v13, s[0:1], s24, v3
	v_subbrev_co_u32_e64 v12, s[0:1], 0, v12, s[0:1]
	v_cmp_le_u32_e64 s[0:1], s25, v12
	v_cndmask_b32_e64 v14, 0, -1, s[0:1]
	v_cmp_le_u32_e64 s[0:1], s24, v13
	v_cndmask_b32_e64 v13, 0, -1, s[0:1]
	v_cmp_eq_u32_e64 s[0:1], s25, v12
	v_cndmask_b32_e64 v12, v14, v13, s[0:1]
	v_add_co_u32_e64 v13, s[0:1], 2, v8
	v_addc_co_u32_e64 v14, s[0:1], 0, v11, s[0:1]
	v_add_co_u32_e64 v15, s[0:1], 1, v8
	v_addc_co_u32_e64 v16, s[0:1], 0, v11, s[0:1]
	v_subb_co_u32_e32 v4, vcc, v10, v4, vcc
	v_cmp_ne_u32_e64 s[0:1], 0, v12
	v_cmp_le_u32_e32 vcc, s25, v4
	v_cndmask_b32_e64 v12, v16, v14, s[0:1]
	v_cndmask_b32_e64 v14, 0, -1, vcc
	v_cmp_le_u32_e32 vcc, s24, v3
	v_cndmask_b32_e64 v3, 0, -1, vcc
	v_cmp_eq_u32_e32 vcc, s25, v4
	v_cndmask_b32_e32 v3, v14, v3, vcc
	v_cmp_ne_u32_e32 vcc, 0, v3
	v_cndmask_b32_e64 v3, v15, v13, s[0:1]
	v_cndmask_b32_e32 v4, v11, v12, vcc
	v_cndmask_b32_e32 v3, v8, v3, vcc
.LBB0_4:                                ;   in Loop: Header=BB0_2 Depth=1
	s_andn2_saveexec_b64 s[0:1], s[26:27]
	s_cbranch_execz .LBB0_6
; %bb.5:                                ;   in Loop: Header=BB0_2 Depth=1
	v_cvt_f32_u32_e32 v3, s24
	s_sub_i32 s26, 0, s24
	v_rcp_iflag_f32_e32 v3, v3
	v_mul_f32_e32 v3, 0x4f7ffffe, v3
	v_cvt_u32_f32_e32 v3, v3
	v_mul_lo_u32 v4, s26, v3
	v_mul_hi_u32 v4, v3, v4
	v_add_u32_e32 v3, v3, v4
	v_mul_hi_u32 v3, v9, v3
	v_mul_lo_u32 v4, v3, s24
	v_add_u32_e32 v8, 1, v3
	v_sub_u32_e32 v4, v9, v4
	v_subrev_u32_e32 v11, s24, v4
	v_cmp_le_u32_e32 vcc, s24, v4
	v_cndmask_b32_e32 v4, v4, v11, vcc
	v_cndmask_b32_e32 v3, v3, v8, vcc
	v_add_u32_e32 v8, 1, v3
	v_cmp_le_u32_e32 vcc, s24, v4
	v_cndmask_b32_e32 v3, v3, v8, vcc
	v_mov_b32_e32 v4, v7
.LBB0_6:                                ;   in Loop: Header=BB0_2 Depth=1
	s_or_b64 exec, exec, s[0:1]
	v_mul_lo_u32 v8, v4, s24
	v_mul_lo_u32 v13, v3, s25
	v_mad_u64_u32 v[11:12], s[0:1], v3, s24, 0
	s_load_dwordx2 s[0:1], s[6:7], 0x0
	s_load_dwordx2 s[24:25], s[2:3], 0x0
	v_add3_u32 v8, v12, v13, v8
	v_sub_co_u32_e32 v9, vcc, v9, v11
	v_subb_co_u32_e32 v8, vcc, v10, v8, vcc
	s_waitcnt lgkmcnt(0)
	v_mul_lo_u32 v10, s0, v8
	v_mul_lo_u32 v11, s1, v9
	v_mad_u64_u32 v[5:6], s[0:1], s0, v9, v[5:6]
	v_mul_lo_u32 v8, s24, v8
	v_mul_lo_u32 v12, s25, v9
	v_mad_u64_u32 v[1:2], s[0:1], s24, v9, v[1:2]
	s_add_u32 s22, s22, 1
	s_addc_u32 s23, s23, 0
	s_add_u32 s2, s2, 8
	v_add3_u32 v2, v12, v2, v8
	s_addc_u32 s3, s3, 0
	v_mov_b32_e32 v8, s10
	s_add_u32 s6, s6, 8
	v_mov_b32_e32 v9, s11
	s_addc_u32 s7, s7, 0
	v_cmp_ge_u64_e32 vcc, s[22:23], v[8:9]
	s_add_u32 s20, s20, 8
	v_add3_u32 v6, v11, v6, v10
	s_addc_u32 s21, s21, 0
	s_cbranch_vccnz .LBB0_9
; %bb.7:                                ;   in Loop: Header=BB0_2 Depth=1
	v_mov_b32_e32 v10, v4
	v_mov_b32_e32 v9, v3
	s_branch .LBB0_2
.LBB0_8:
	v_mov_b32_e32 v1, v5
	v_mov_b32_e32 v3, v9
	;; [unrolled: 1-line block ×4, first 2 shown]
.LBB0_9:
	s_load_dwordx2 s[0:1], s[4:5], 0x28
	s_lshl_b64 s[6:7], s[10:11], 3
	s_add_u32 s2, s18, s6
	s_addc_u32 s3, s19, s7
                                        ; implicit-def: $sgpr10_sgpr11
                                        ; implicit-def: $vgpr42
                                        ; implicit-def: $vgpr44
	s_waitcnt lgkmcnt(0)
	v_cmp_gt_u64_e32 vcc, s[0:1], v[3:4]
	v_cmp_le_u64_e64 s[0:1], s[0:1], v[3:4]
	s_and_saveexec_b64 s[4:5], s[0:1]
	s_xor_b64 s[0:1], exec, s[4:5]
; %bb.10:
	s_mov_b32 s4, 0x2492493
	v_mul_hi_u32 v5, v0, s4
	s_mov_b64 s[10:11], 0
	v_mul_u32_u24_e32 v5, 0x70, v5
	v_sub_u32_e32 v42, v0, v5
	v_or_b32_e32 v44, 0x380, v42
                                        ; implicit-def: $vgpr0
                                        ; implicit-def: $vgpr5_vgpr6
; %bb.11:
	s_or_saveexec_b64 s[4:5], s[0:1]
	v_mov_b32_e32 v39, s11
	v_mov_b32_e32 v13, s11
	;; [unrolled: 1-line block ×18, first 2 shown]
                                        ; implicit-def: $vgpr41
                                        ; implicit-def: $vgpr7
                                        ; implicit-def: $vgpr25
                                        ; implicit-def: $vgpr23
                                        ; implicit-def: $vgpr15
                                        ; implicit-def: $vgpr21
                                        ; implicit-def: $vgpr27
                                        ; implicit-def: $vgpr9
                                        ; implicit-def: $vgpr11
	s_xor_b64 exec, exec, s[4:5]
	s_cbranch_execz .LBB0_13
; %bb.12:
	s_add_u32 s0, s16, s6
	s_addc_u32 s1, s17, s7
	s_load_dwordx2 s[0:1], s[0:1], 0x0
	s_mov_b32 s6, 0x2492493
	v_mul_hi_u32 v9, v0, s6
	v_lshlrev_b64 v[5:6], 3, v[5:6]
	s_waitcnt lgkmcnt(0)
	v_mul_lo_u32 v10, s1, v3
	v_mul_lo_u32 v11, s0, v4
	v_mad_u64_u32 v[7:8], s[0:1], s0, v3, 0
	v_mul_u32_u24_e32 v9, 0x70, v9
	v_sub_u32_e32 v42, v0, v9
	v_add3_u32 v8, v8, v11, v10
	v_lshlrev_b64 v[7:8], 3, v[7:8]
	v_mov_b32_e32 v0, s13
	v_add_co_u32_e64 v7, s[0:1], s12, v7
	v_addc_co_u32_e64 v0, s[0:1], v0, v8, s[0:1]
	v_add_co_u32_e64 v5, s[0:1], v7, v5
	v_addc_co_u32_e64 v0, s[0:1], v0, v6, s[0:1]
	v_lshlrev_b32_e32 v14, 3, v42
	v_add_co_u32_e64 v45, s[0:1], v5, v14
	v_addc_co_u32_e64 v46, s[0:1], 0, v0, s[0:1]
	s_movk_i32 s0, 0x1000
	v_add_co_u32_e64 v47, s[0:1], s0, v45
	v_addc_co_u32_e64 v48, s[0:1], 0, v46, s[0:1]
	s_movk_i32 s0, 0x2000
	;; [unrolled: 3-line block ×3, first 2 shown]
	v_add_co_u32_e64 v51, s[0:1], s0, v45
	v_addc_co_u32_e64 v52, s[0:1], 0, v46, s[0:1]
	v_or_b32_e32 v14, 0x3800, v14
	v_add_co_u32_e64 v53, s[0:1], v5, v14
	v_or_b32_e32 v44, 0x380, v42
	v_addc_co_u32_e64 v54, s[0:1], 0, v0, s[0:1]
	v_lshlrev_b32_e32 v14, 3, v44
	v_add_co_u32_e64 v55, s[0:1], v5, v14
	global_load_dwordx2 v[38:39], v[45:46], off
	global_load_dwordx2 v[12:13], v[45:46], off offset:896
	global_load_dwordx2 v[16:17], v[45:46], off offset:1792
	;; [unrolled: 1-line block ×7, first 2 shown]
	v_addc_co_u32_e64 v56, s[0:1], 0, v0, s[0:1]
	global_load_dwordx2 v[36:37], v[45:46], off offset:3584
	global_load_dwordx2 v[34:35], v[47:48], off offset:384
	;; [unrolled: 1-line block ×4, first 2 shown]
	global_load_dwordx2 v[14:15], v[53:54], off
	global_load_dwordx2 v[30:31], v[55:56], off
	global_load_dwordx2 v[24:25], v[49:50], off offset:3456
	global_load_dwordx2 v[22:23], v[51:52], off offset:256
	global_load_dwordx2 v[26:27], v[51:52], off offset:1152
	global_load_dwordx2 v[20:21], v[51:52], off offset:2944
.LBB0_13:
	s_or_b64 exec, exec, s[4:5]
	v_and_b32_e32 v0, 1, v43
	v_mov_b32_e32 v5, 0x1f80
	v_cmp_eq_u32_e64 s[0:1], 1, v0
	v_cndmask_b32_e64 v43, 0, v5, s[0:1]
	s_waitcnt vmcnt(13)
	v_sub_f32_e32 v48, v39, v41
	v_sub_f32_e32 v46, v38, v40
	v_fma_f32 v47, v39, 2.0, -v48
	s_waitcnt vmcnt(12)
	v_sub_f32_e32 v39, v12, v10
	v_add_u32_e32 v5, 0, v43
	v_add_u32_e32 v0, 0x70, v42
	v_fma_f32 v45, v38, 2.0, -v46
	v_fma_f32 v38, v12, 2.0, -v39
	v_lshl_add_u32 v64, v0, 3, v5
	ds_write_b64 v64, v[38:39]
	s_waitcnt vmcnt(11)
	v_sub_f32_e32 v40, v16, v8
	v_add_u32_e32 v38, 0xe0, v42
	v_lshl_add_u32 v63, v42, 3, v5
	v_fma_f32 v39, v16, 2.0, -v40
	v_lshl_add_u32 v65, v38, 3, v5
	ds_write_b64 v63, v[45:46]
	ds_write_b64 v65, v[39:40]
	s_waitcnt vmcnt(10)
	v_sub_f32_e32 v46, v18, v6
	v_add_u32_e32 v40, 0x150, v42
	v_fma_f32 v45, v18, 2.0, -v46
	v_lshl_add_u32 v66, v40, 3, v5
	ds_write_b64 v66, v[45:46]
	s_waitcnt vmcnt(3)
	v_sub_f32_e32 v46, v36, v24
	v_add_u32_e32 v41, 0x1c0, v42
	v_fma_f32 v45, v36, 2.0, -v46
	v_lshl_add_u32 v67, v41, 3, v5
	;; [unrolled: 6-line block ×3, first 2 shown]
	ds_write_b64 v68, v[45:46]
	s_waitcnt vmcnt(1)
	v_sub_f32_e32 v46, v32, v26
	v_fma_f32 v45, v32, 2.0, -v46
	v_add_u32_e32 v32, 0x2a0, v42
	v_lshl_add_u32 v26, v32, 3, v5
	ds_write_b64 v26, v[45:46]
	v_sub_f32_e32 v46, v28, v14
	v_add_u32_e32 v69, 0x310, v42
	v_fma_f32 v45, v28, 2.0, -v46
	v_lshl_add_u32 v28, v69, 3, v5
	ds_write_b64 v28, v[45:46]
	s_waitcnt vmcnt(0)
	v_sub_f32_e32 v46, v30, v20
	v_lshlrev_b32_e32 v6, 2, v42
	v_fma_f32 v45, v30, 2.0, -v46
	v_lshl_add_u32 v30, v44, 3, v5
	v_add_u32_e32 v39, v5, v6
	v_add3_u32 v36, 0, v6, v43
	v_lshlrev_b32_e32 v6, 2, v44
	v_sub_f32_e32 v7, v19, v7
	v_sub_u32_e32 v18, v30, v6
	v_fma_f32 v6, v19, 2.0, -v7
	ds_write_b64 v30, v[45:46]
	s_load_dwordx2 s[2:3], s[2:3], 0x0
	s_waitcnt lgkmcnt(0)
	s_barrier
	v_add_u32_e32 v16, 0xc00, v36
	v_add_u32_e32 v20, 0x1000, v36
	;; [unrolled: 1-line block ×7, first 2 shown]
	ds_read_b32 v70, v39
	ds_read_b32 v71, v18
	ds_read2_b32 v[45:46], v16 offset0:16 offset1:240
	ds_read2_b32 v[49:50], v36 offset0:112 offset1:224
	;; [unrolled: 1-line block ×7, first 2 shown]
	ds_read2_b32 v[61:62], v22 offset1:112
	s_waitcnt lgkmcnt(0)
	s_barrier
	ds_write_b64 v66, v[6:7]
	v_sub_f32_e32 v7, v37, v25
	v_fma_f32 v6, v37, 2.0, -v7
	ds_write_b64 v67, v[6:7]
	v_sub_f32_e32 v7, v35, v23
	v_fma_f32 v6, v35, 2.0, -v7
	;; [unrolled: 3-line block ×4, first 2 shown]
	ds_write_b64 v63, v[47:48]
	v_sub_f32_e32 v48, v13, v11
	v_sub_f32_e32 v9, v17, v9
	ds_write_b64 v28, v[6:7]
	v_sub_f32_e32 v7, v31, v21
	v_fma_f32 v47, v13, 2.0, -v48
	v_fma_f32 v8, v17, 2.0, -v9
	;; [unrolled: 1-line block ×3, first 2 shown]
	v_and_b32_e32 v21, 1, v42
	ds_write_b64 v64, v[47:48]
	ds_write_b64 v65, v[8:9]
	;; [unrolled: 1-line block ×3, first 2 shown]
	v_lshlrev_b32_e32 v6, 3, v21
	s_waitcnt lgkmcnt(0)
	s_barrier
	global_load_dwordx2 v[6:7], v6, s[8:9]
	ds_read2_b32 v[8:9], v20 offset0:96 offset1:208
	ds_read2_b32 v[25:26], v14 offset0:64 offset1:176
	;; [unrolled: 1-line block ×3, first 2 shown]
	s_movk_i32 s0, 0xfc
	s_movk_i32 s1, 0x5fc
	s_waitcnt vmcnt(0)
	v_mul_f32_e32 v23, v51, v7
	s_waitcnt lgkmcnt(2)
	v_mul_f32_e32 v11, v8, v7
	v_fmac_f32_e32 v23, v8, v6
	s_waitcnt lgkmcnt(1)
	v_mul_f32_e32 v8, v25, v7
	v_mul_f32_e32 v35, v52, v7
	v_fma_f32 v15, v55, v6, -v8
	v_mul_f32_e32 v8, v26, v7
	v_mul_f32_e32 v13, v9, v7
	v_fmac_f32_e32 v35, v9, v6
	v_fma_f32 v17, v56, v6, -v8
	ds_read2_b32 v[8:9], v34 offset0:32 offset1:144
	v_mul_f32_e32 v37, v55, v7
	v_mul_f32_e32 v63, v56, v7
	v_fmac_f32_e32 v37, v25, v6
	v_fmac_f32_e32 v63, v26, v6
	s_waitcnt lgkmcnt(0)
	v_mul_f32_e32 v25, v9, v7
	v_fma_f32 v33, v60, v6, -v25
	ds_read2_b32 v[25:26], v22 offset1:112
	v_mul_f32_e32 v19, v8, v7
	v_fma_f32 v19, v59, v6, -v19
	v_mul_f32_e32 v59, v59, v7
	v_fmac_f32_e32 v59, v8, v6
	s_waitcnt lgkmcnt(0)
	v_mul_f32_e32 v8, v25, v7
	v_fma_f32 v47, v61, v6, -v8
	v_mul_f32_e32 v8, v26, v7
	v_fma_f32 v48, v62, v6, -v8
	v_mul_f32_e32 v8, v28, v7
	v_mul_f32_e32 v60, v60, v7
	v_mul_f32_e32 v61, v61, v7
	v_mul_f32_e32 v62, v62, v7
	v_fma_f32 v8, v46, v6, -v8
	v_mul_f32_e32 v46, v46, v7
	v_fma_f32 v11, v51, v6, -v11
	v_fma_f32 v13, v52, v6, -v13
	v_fmac_f32_e32 v60, v9, v6
	v_fmac_f32_e32 v61, v25, v6
	;; [unrolled: 1-line block ×4, first 2 shown]
	v_lshlrev_b32_e32 v6, 1, v42
	v_sub_f32_e32 v7, v70, v8
	v_and_or_b32 v9, v6, s0, v21
	v_fma_f32 v8, v70, 2.0, -v7
	v_lshl_add_u32 v65, v9, 2, v5
	ds_read_b32 v51, v39
	ds_read_b32 v64, v18
	ds_read2_b32 v[25:26], v36 offset0:112 offset1:224
	ds_read2_b32 v[28:29], v12 offset0:80 offset1:192
	;; [unrolled: 1-line block ×3, first 2 shown]
	s_waitcnt lgkmcnt(0)
	s_barrier
	ds_write2_b32 v65, v8, v7 offset1:2
	s_movk_i32 s0, 0x1fc
	v_lshlrev_b32_e32 v7, 1, v0
	v_sub_f32_e32 v8, v49, v11
	v_and_or_b32 v9, v7, s0, v21
	v_lshl_add_u32 v66, v9, 2, v5
	v_fma_f32 v9, v49, 2.0, -v8
	ds_write2_b32 v66, v9, v8 offset1:2
	s_movk_i32 s0, 0x3fc
	v_lshlrev_b32_e32 v8, 1, v38
	v_sub_f32_e32 v9, v50, v13
	v_and_or_b32 v13, v8, s0, v21
	v_fma_f32 v11, v50, 2.0, -v9
	v_lshl_add_u32 v67, v13, 2, v5
	ds_write2_b32 v67, v11, v9 offset1:2
	v_lshlrev_b32_e32 v9, 1, v40
	v_sub_f32_e32 v11, v53, v15
	v_and_or_b32 v13, v9, s0, v21
	v_lshl_add_u32 v68, v13, 2, v5
	v_fma_f32 v13, v53, 2.0, -v11
	ds_write2_b32 v68, v13, v11 offset1:2
	s_movk_i32 s0, 0x7fc
	v_lshlrev_b32_e32 v11, 1, v41
	v_sub_f32_e32 v13, v54, v17
	v_and_or_b32 v17, v11, s0, v21
	v_fma_f32 v15, v54, 2.0, -v13
	v_lshl_add_u32 v70, v17, 2, v5
	ds_write2_b32 v70, v15, v13 offset1:2
	v_lshlrev_b32_e32 v13, 1, v24
	v_sub_f32_e32 v15, v57, v19
	v_and_or_b32 v17, v13, s1, v21
	v_lshl_add_u32 v72, v17, 2, v5
	v_fma_f32 v17, v57, 2.0, -v15
	ds_write2_b32 v72, v17, v15 offset1:2
	v_lshlrev_b32_e32 v15, 1, v32
	v_sub_f32_e32 v17, v58, v33
	v_and_or_b32 v32, v15, s0, v21
	v_fma_f32 v19, v58, 2.0, -v17
	v_lshl_add_u32 v58, v32, 2, v5
	ds_write2_b32 v58, v19, v17 offset1:2
	v_lshlrev_b32_e32 v17, 1, v69
	v_sub_f32_e32 v19, v45, v47
	v_and_or_b32 v33, v17, s0, v21
	v_fma_f32 v32, v45, 2.0, -v19
	v_lshl_add_u32 v69, v33, 2, v5
	ds_write2_b32 v69, v32, v19 offset1:2
	v_lshlrev_b32_e32 v19, 1, v44
	v_sub_f32_e32 v32, v71, v48
	v_fma_f32 v33, v71, 2.0, -v32
	v_and_or_b32 v21, v19, s0, v21
	v_sub_f32_e32 v71, v51, v46
	v_sub_f32_e32 v23, v25, v23
	v_lshl_add_u32 v21, v21, 2, v5
	v_fma_f32 v73, v51, 2.0, -v71
	v_fma_f32 v25, v25, 2.0, -v23
	ds_write2_b32 v21, v33, v32 offset1:2
	s_waitcnt lgkmcnt(0)
	s_barrier
	ds_read_b32 v74, v39
	ds_read_b32 v75, v18
	ds_read2_b32 v[32:33], v16 offset0:16 offset1:240
	ds_read2_b32 v[44:45], v36 offset0:112 offset1:224
	;; [unrolled: 1-line block ×7, first 2 shown]
	ds_read2_b32 v[56:57], v22 offset1:112
	s_waitcnt lgkmcnt(0)
	s_barrier
	ds_write2_b32 v65, v73, v71 offset1:2
	ds_write2_b32 v66, v25, v23 offset1:2
	v_sub_f32_e32 v23, v26, v35
	v_fma_f32 v25, v26, 2.0, -v23
	ds_write2_b32 v67, v25, v23 offset1:2
	v_sub_f32_e32 v23, v28, v37
	v_fma_f32 v25, v28, 2.0, -v23
	;; [unrolled: 3-line block ×7, first 2 shown]
	ds_write2_b32 v21, v25, v23 offset1:2
	v_and_b32_e32 v21, 3, v42
	v_lshlrev_b32_e32 v23, 3, v21
	s_waitcnt lgkmcnt(0)
	s_barrier
	global_load_dwordx2 v[25:26], v23, s[8:9] offset:16
	ds_read2_b32 v[27:28], v20 offset0:96 offset1:208
	s_movk_i32 s0, 0xf8
	v_and_or_b32 v67, v6, s0, v21
	v_lshl_add_u32 v67, v67, 2, v5
	s_movk_i32 s0, 0x1f8
	s_movk_i32 s1, 0x5f8
	s_waitcnt vmcnt(0) lgkmcnt(0)
	v_mul_f32_e32 v29, v28, v26
	v_fma_f32 v35, v47, v25, -v29
	ds_read2_b32 v[29:30], v14 offset0:64 offset1:176
	v_mul_f32_e32 v37, v46, v26
	v_mul_f32_e32 v23, v27, v26
	v_fmac_f32_e32 v37, v27, v25
	v_fma_f32 v23, v46, v25, -v23
	s_waitcnt lgkmcnt(0)
	v_mul_f32_e32 v27, v29, v26
	v_mul_f32_e32 v58, v47, v26
	v_fma_f32 v46, v50, v25, -v27
	v_mul_f32_e32 v27, v30, v26
	v_fmac_f32_e32 v58, v28, v25
	v_fma_f32 v47, v51, v25, -v27
	ds_read2_b32 v[27:28], v34 offset0:32 offset1:144
	v_mul_f32_e32 v59, v50, v26
	v_fmac_f32_e32 v59, v29, v25
	v_mul_f32_e32 v60, v51, v26
	v_fmac_f32_e32 v60, v30, v25
	s_waitcnt lgkmcnt(0)
	v_mul_f32_e32 v29, v27, v26
	v_fma_f32 v50, v54, v25, -v29
	v_mul_f32_e32 v29, v28, v26
	v_fma_f32 v51, v55, v25, -v29
	ds_read2_b32 v[29:30], v22 offset1:112
	v_mul_f32_e32 v61, v54, v26
	v_fmac_f32_e32 v61, v27, v25
	v_mul_f32_e32 v62, v55, v26
	v_fmac_f32_e32 v62, v28, v25
	s_waitcnt lgkmcnt(0)
	v_mul_f32_e32 v27, v29, v26
	v_fma_f32 v54, v56, v25, -v27
	v_mul_f32_e32 v27, v30, v26
	v_fma_f32 v55, v57, v25, -v27
	ds_read2_b32 v[27:28], v16 offset0:16 offset1:240
	v_mul_f32_e32 v63, v56, v26
	v_fmac_f32_e32 v63, v29, v25
	v_mul_f32_e32 v64, v57, v26
	v_fmac_f32_e32 v64, v30, v25
	s_waitcnt lgkmcnt(0)
	v_mul_f32_e32 v29, v28, v26
	v_fma_f32 v29, v33, v25, -v29
	v_sub_f32_e32 v56, v74, v29
	v_mul_f32_e32 v33, v33, v26
	v_fma_f32 v57, v74, 2.0, -v56
	v_fmac_f32_e32 v33, v28, v25
	ds_read_b32 v65, v39
	ds_read_b32 v66, v18
	ds_read2_b32 v[25:26], v36 offset0:112 offset1:224
	ds_read2_b32 v[28:29], v12 offset0:80 offset1:192
	;; [unrolled: 1-line block ×3, first 2 shown]
	s_waitcnt lgkmcnt(0)
	s_barrier
	ds_write2_b32 v67, v57, v56 offset1:4
	v_sub_f32_e32 v23, v44, v23
	v_and_or_b32 v56, v7, s0, v21
	v_lshl_add_u32 v68, v56, 2, v5
	v_fma_f32 v44, v44, 2.0, -v23
	s_movk_i32 s0, 0x3f8
	ds_write2_b32 v68, v44, v23 offset1:4
	v_sub_f32_e32 v23, v45, v35
	v_and_or_b32 v44, v8, s0, v21
	v_fma_f32 v35, v45, 2.0, -v23
	v_lshl_add_u32 v69, v44, 2, v5
	ds_write2_b32 v69, v35, v23 offset1:4
	v_sub_f32_e32 v23, v48, v46
	v_and_or_b32 v35, v9, s0, v21
	v_lshl_add_u32 v35, v35, 2, v5
	v_fma_f32 v44, v48, 2.0, -v23
	s_movk_i32 s0, 0x7f8
	ds_write2_b32 v35, v44, v23 offset1:4
	v_sub_f32_e32 v23, v49, v47
	v_and_or_b32 v45, v11, s0, v21
	v_fma_f32 v44, v49, 2.0, -v23
	v_lshl_add_u32 v70, v45, 2, v5
	ds_write2_b32 v70, v44, v23 offset1:4
	v_sub_f32_e32 v23, v52, v50
	v_and_or_b32 v44, v13, s1, v21
	v_lshl_add_u32 v71, v44, 2, v5
	v_fma_f32 v44, v52, 2.0, -v23
	ds_write2_b32 v71, v44, v23 offset1:4
	v_sub_f32_e32 v23, v53, v51
	v_and_or_b32 v45, v15, s0, v21
	v_fma_f32 v44, v53, 2.0, -v23
	v_lshl_add_u32 v72, v45, 2, v5
	ds_write2_b32 v72, v44, v23 offset1:4
	v_sub_f32_e32 v23, v32, v54
	v_and_or_b32 v44, v17, s0, v21
	v_fma_f32 v32, v32, 2.0, -v23
	v_lshl_add_u32 v73, v44, 2, v5
	;; [unrolled: 5-line block ×3, first 2 shown]
	ds_write2_b32 v21, v32, v23 offset1:4
	v_sub_f32_e32 v23, v65, v33
	v_fma_f32 v65, v65, 2.0, -v23
	s_waitcnt lgkmcnt(0)
	s_barrier
	ds_read_b32 v74, v39
	ds_read_b32 v75, v18
	ds_read2_b32 v[32:33], v16 offset0:16 offset1:240
	ds_read2_b32 v[44:45], v36 offset0:112 offset1:224
	;; [unrolled: 1-line block ×7, first 2 shown]
	ds_read2_b32 v[56:57], v22 offset1:112
	s_waitcnt lgkmcnt(0)
	s_barrier
	ds_write2_b32 v67, v65, v23 offset1:4
	v_sub_f32_e32 v23, v25, v37
	v_fma_f32 v25, v25, 2.0, -v23
	ds_write2_b32 v68, v25, v23 offset1:4
	v_sub_f32_e32 v23, v26, v58
	v_fma_f32 v25, v26, 2.0, -v23
	;; [unrolled: 3-line block ×8, first 2 shown]
	ds_write2_b32 v21, v25, v23 offset1:4
	v_and_b32_e32 v21, 7, v42
	v_lshlrev_b32_e32 v23, 3, v21
	s_waitcnt lgkmcnt(0)
	s_barrier
	global_load_dwordx2 v[25:26], v23, s[8:9] offset:48
	ds_read2_b32 v[27:28], v20 offset0:96 offset1:208
	s_movk_i32 s0, 0xf0
	v_and_or_b32 v67, v6, s0, v21
	v_lshl_add_u32 v67, v67, 2, v5
	s_movk_i32 s0, 0x1f0
	s_movk_i32 s1, 0x5f0
	s_waitcnt vmcnt(0) lgkmcnt(0)
	v_mul_f32_e32 v29, v28, v26
	v_fma_f32 v35, v47, v25, -v29
	ds_read2_b32 v[29:30], v14 offset0:64 offset1:176
	v_mul_f32_e32 v37, v46, v26
	v_mul_f32_e32 v23, v27, v26
	v_fmac_f32_e32 v37, v27, v25
	v_fma_f32 v23, v46, v25, -v23
	s_waitcnt lgkmcnt(0)
	v_mul_f32_e32 v27, v29, v26
	v_mul_f32_e32 v58, v47, v26
	v_fma_f32 v46, v50, v25, -v27
	v_mul_f32_e32 v27, v30, v26
	v_fmac_f32_e32 v58, v28, v25
	v_fma_f32 v47, v51, v25, -v27
	ds_read2_b32 v[27:28], v34 offset0:32 offset1:144
	v_mul_f32_e32 v59, v50, v26
	v_fmac_f32_e32 v59, v29, v25
	v_mul_f32_e32 v60, v51, v26
	v_fmac_f32_e32 v60, v30, v25
	s_waitcnt lgkmcnt(0)
	v_mul_f32_e32 v29, v27, v26
	v_fma_f32 v50, v54, v25, -v29
	v_mul_f32_e32 v29, v28, v26
	v_fma_f32 v51, v55, v25, -v29
	ds_read2_b32 v[29:30], v22 offset1:112
	v_mul_f32_e32 v61, v54, v26
	v_fmac_f32_e32 v61, v27, v25
	v_mul_f32_e32 v62, v55, v26
	v_fmac_f32_e32 v62, v28, v25
	s_waitcnt lgkmcnt(0)
	v_mul_f32_e32 v27, v29, v26
	v_fma_f32 v54, v56, v25, -v27
	v_mul_f32_e32 v27, v30, v26
	v_fma_f32 v55, v57, v25, -v27
	ds_read2_b32 v[27:28], v16 offset0:16 offset1:240
	v_mul_f32_e32 v63, v56, v26
	v_fmac_f32_e32 v63, v29, v25
	v_mul_f32_e32 v64, v57, v26
	v_fmac_f32_e32 v64, v30, v25
	s_waitcnt lgkmcnt(0)
	v_mul_f32_e32 v29, v28, v26
	v_fma_f32 v29, v33, v25, -v29
	v_sub_f32_e32 v56, v74, v29
	v_mul_f32_e32 v33, v33, v26
	v_fma_f32 v57, v74, 2.0, -v56
	v_fmac_f32_e32 v33, v28, v25
	ds_read_b32 v65, v39
	ds_read_b32 v66, v18
	ds_read2_b32 v[25:26], v36 offset0:112 offset1:224
	ds_read2_b32 v[28:29], v12 offset0:80 offset1:192
	;; [unrolled: 1-line block ×3, first 2 shown]
	s_waitcnt lgkmcnt(0)
	s_barrier
	ds_write2_b32 v67, v57, v56 offset1:8
	v_sub_f32_e32 v23, v44, v23
	v_and_or_b32 v56, v7, s0, v21
	v_lshl_add_u32 v68, v56, 2, v5
	v_fma_f32 v44, v44, 2.0, -v23
	s_movk_i32 s0, 0x3f0
	ds_write2_b32 v68, v44, v23 offset1:8
	v_sub_f32_e32 v23, v45, v35
	v_and_or_b32 v44, v8, s0, v21
	v_fma_f32 v35, v45, 2.0, -v23
	v_lshl_add_u32 v69, v44, 2, v5
	ds_write2_b32 v69, v35, v23 offset1:8
	v_sub_f32_e32 v23, v48, v46
	v_and_or_b32 v35, v9, s0, v21
	v_lshl_add_u32 v35, v35, 2, v5
	v_fma_f32 v44, v48, 2.0, -v23
	s_movk_i32 s0, 0x7f0
	ds_write2_b32 v35, v44, v23 offset1:8
	v_sub_f32_e32 v23, v49, v47
	v_and_or_b32 v45, v11, s0, v21
	v_fma_f32 v44, v49, 2.0, -v23
	v_lshl_add_u32 v70, v45, 2, v5
	ds_write2_b32 v70, v44, v23 offset1:8
	v_sub_f32_e32 v23, v52, v50
	v_and_or_b32 v44, v13, s1, v21
	v_lshl_add_u32 v71, v44, 2, v5
	v_fma_f32 v44, v52, 2.0, -v23
	ds_write2_b32 v71, v44, v23 offset1:8
	v_sub_f32_e32 v23, v53, v51
	v_and_or_b32 v45, v15, s0, v21
	v_fma_f32 v44, v53, 2.0, -v23
	v_lshl_add_u32 v72, v45, 2, v5
	ds_write2_b32 v72, v44, v23 offset1:8
	v_sub_f32_e32 v23, v32, v54
	v_and_or_b32 v44, v17, s0, v21
	v_fma_f32 v32, v32, 2.0, -v23
	v_lshl_add_u32 v73, v44, 2, v5
	;; [unrolled: 5-line block ×3, first 2 shown]
	ds_write2_b32 v21, v32, v23 offset1:8
	v_sub_f32_e32 v23, v65, v33
	v_fma_f32 v65, v65, 2.0, -v23
	s_waitcnt lgkmcnt(0)
	s_barrier
	ds_read_b32 v74, v39
	ds_read_b32 v75, v18
	ds_read2_b32 v[32:33], v16 offset0:16 offset1:240
	ds_read2_b32 v[44:45], v36 offset0:112 offset1:224
	;; [unrolled: 1-line block ×7, first 2 shown]
	ds_read2_b32 v[56:57], v22 offset1:112
	s_waitcnt lgkmcnt(0)
	s_barrier
	ds_write2_b32 v67, v65, v23 offset1:8
	v_sub_f32_e32 v23, v25, v37
	v_fma_f32 v25, v25, 2.0, -v23
	ds_write2_b32 v68, v25, v23 offset1:8
	v_sub_f32_e32 v23, v26, v58
	v_fma_f32 v25, v26, 2.0, -v23
	;; [unrolled: 3-line block ×8, first 2 shown]
	ds_write2_b32 v21, v25, v23 offset1:8
	v_and_b32_e32 v21, 15, v42
	v_lshlrev_b32_e32 v23, 3, v21
	s_waitcnt lgkmcnt(0)
	s_barrier
	global_load_dwordx2 v[25:26], v23, s[8:9] offset:112
	ds_read2_b32 v[27:28], v20 offset0:96 offset1:208
	s_movk_i32 s0, 0xe0
	v_and_or_b32 v6, v6, s0, v21
	s_movk_i32 s0, 0x1e0
	v_and_or_b32 v7, v7, s0, v21
	v_lshl_add_u32 v6, v6, 2, v5
	v_lshl_add_u32 v7, v7, 2, v5
	s_movk_i32 s0, 0x3e0
	v_and_or_b32 v8, v8, s0, v21
	v_lshl_add_u32 v8, v8, 2, v5
	v_and_or_b32 v9, v9, s0, v21
	v_lshl_add_u32 v9, v9, 2, v5
	s_movk_i32 s0, 0x7e0
	v_and_or_b32 v11, v11, s0, v21
	v_lshl_add_u32 v11, v11, 2, v5
	s_movk_i32 s1, 0x5e0
	v_and_or_b32 v13, v13, s1, v21
	v_lshl_add_u32 v13, v13, 2, v5
	v_and_or_b32 v15, v15, s0, v21
	v_lshl_add_u32 v15, v15, 2, v5
	;; [unrolled: 2-line block ×4, first 2 shown]
	s_mov_b32 s0, 0xaaab
	s_waitcnt vmcnt(0) lgkmcnt(0)
	v_mul_f32_e32 v29, v28, v26
	v_fma_f32 v35, v47, v25, -v29
	ds_read2_b32 v[29:30], v14 offset0:64 offset1:176
	v_mul_f32_e32 v37, v46, v26
	v_mul_f32_e32 v23, v27, v26
	v_fmac_f32_e32 v37, v27, v25
	v_fma_f32 v23, v46, v25, -v23
	s_waitcnt lgkmcnt(0)
	v_mul_f32_e32 v27, v29, v26
	v_mul_f32_e32 v58, v47, v26
	v_fma_f32 v46, v50, v25, -v27
	v_mul_f32_e32 v27, v30, v26
	v_fmac_f32_e32 v58, v28, v25
	v_fma_f32 v47, v51, v25, -v27
	ds_read2_b32 v[27:28], v34 offset0:32 offset1:144
	v_mul_f32_e32 v59, v50, v26
	v_fmac_f32_e32 v59, v29, v25
	v_mul_f32_e32 v60, v51, v26
	v_fmac_f32_e32 v60, v30, v25
	s_waitcnt lgkmcnt(0)
	v_mul_f32_e32 v29, v27, v26
	v_fma_f32 v50, v54, v25, -v29
	v_mul_f32_e32 v29, v28, v26
	v_fma_f32 v51, v55, v25, -v29
	ds_read2_b32 v[29:30], v22 offset1:112
	v_mul_f32_e32 v61, v54, v26
	v_fmac_f32_e32 v61, v27, v25
	v_mul_f32_e32 v62, v55, v26
	v_fmac_f32_e32 v62, v28, v25
	s_waitcnt lgkmcnt(0)
	v_mul_f32_e32 v27, v29, v26
	v_fma_f32 v54, v56, v25, -v27
	v_mul_f32_e32 v27, v30, v26
	v_fma_f32 v55, v57, v25, -v27
	ds_read2_b32 v[27:28], v16 offset0:16 offset1:240
	v_mul_f32_e32 v63, v56, v26
	v_fmac_f32_e32 v63, v29, v25
	v_sub_f32_e32 v23, v44, v23
	v_mul_f32_e32 v64, v57, v26
	s_waitcnt lgkmcnt(0)
	v_mul_f32_e32 v29, v28, v26
	v_fma_f32 v29, v33, v25, -v29
	v_sub_f32_e32 v56, v74, v29
	v_mul_f32_e32 v33, v33, v26
	v_fma_f32 v57, v74, 2.0, -v56
	v_fma_f32 v44, v44, 2.0, -v23
	v_fmac_f32_e32 v64, v30, v25
	v_fmac_f32_e32 v33, v28, v25
	ds_read_b32 v65, v39
	ds_read_b32 v66, v18
	ds_read2_b32 v[25:26], v36 offset0:112 offset1:224
	ds_read2_b32 v[28:29], v12 offset0:80 offset1:192
	ds_read2_b32 v[30:31], v10 offset0:48 offset1:160
	s_waitcnt lgkmcnt(0)
	s_barrier
	ds_write2_b32 v6, v57, v56 offset1:16
	ds_write2_b32 v7, v44, v23 offset1:16
	v_sub_f32_e32 v23, v45, v35
	v_fma_f32 v35, v45, 2.0, -v23
	ds_write2_b32 v8, v35, v23 offset1:16
	v_sub_f32_e32 v23, v48, v46
	v_fma_f32 v35, v48, 2.0, -v23
	;; [unrolled: 3-line block ×6, first 2 shown]
	v_sub_f32_e32 v21, v75, v55
	ds_write2_b32 v17, v32, v23 offset1:16
	v_fma_f32 v23, v75, 2.0, -v21
	ds_write2_b32 v19, v23, v21 offset1:16
	v_sub_f32_e32 v21, v65, v33
	v_fma_f32 v23, v65, 2.0, -v21
	s_waitcnt lgkmcnt(0)
	s_barrier
	ds_read_b32 v35, v39
	ds_read_b32 v67, v18
	ds_read2_b32 v[32:33], v10 offset0:48 offset1:160
	ds_read2_b32 v[44:45], v14 offset0:64 offset1:176
	;; [unrolled: 1-line block ×7, first 2 shown]
	ds_read2_b32 v[56:57], v22 offset1:112
	s_waitcnt lgkmcnt(0)
	s_barrier
	ds_write2_b32 v6, v23, v21 offset1:16
	v_sub_f32_e32 v6, v25, v37
	v_fma_f32 v21, v25, 2.0, -v6
	ds_write2_b32 v7, v21, v6 offset1:16
	v_sub_f32_e32 v6, v26, v58
	v_fma_f32 v7, v26, 2.0, -v6
	;; [unrolled: 3-line block ×7, first 2 shown]
	v_sub_f32_e32 v8, v66, v64
	v_and_b32_e32 v11, 31, v40
	v_fma_f32 v9, v66, 2.0, -v8
	ds_write2_b32 v17, v7, v6 offset1:16
	ds_write2_b32 v19, v9, v8 offset1:16
	v_lshlrev_b32_e32 v6, 4, v11
	s_waitcnt lgkmcnt(0)
	s_barrier
	global_load_dwordx4 v[6:9], v6, s[8:9] offset:240
	v_and_b32_e32 v13, 31, v42
	v_lshlrev_b32_e32 v15, 4, v13
	global_load_dwordx4 v[25:28], v15, s[8:9] offset:240
	v_and_b32_e32 v15, 31, v24
	v_lshlrev_b32_e32 v17, 4, v15
	global_load_dword v19, v17, s[8:9] offset:252
	global_load_dwordx2 v[29:30], v17, s[8:9] offset:248
	global_load_dwordx2 v[58:59], v17, s[8:9] offset:244
	;; [unrolled: 1-line block ×3, first 2 shown]
	v_and_b32_e32 v17, 31, v0
	v_lshlrev_b32_e32 v21, 4, v17
	global_load_dword v21, v21, s[8:9] offset:240
	ds_read2_b32 v[62:63], v16 offset0:16 offset1:240
	ds_read2_b32 v[64:65], v34 offset0:32 offset1:144
	s_waitcnt vmcnt(6) lgkmcnt(1)
	v_mul_f32_e32 v23, v63, v7
	v_mul_f32_e32 v37, v49, v7
	v_fma_f32 v23, v49, v6, -v23
	v_fmac_f32_e32 v37, v63, v6
	s_waitcnt lgkmcnt(0)
	v_mul_f32_e32 v6, v65, v9
	v_fma_f32 v63, v51, v8, -v6
	v_mul_f32_e32 v66, v51, v9
	s_waitcnt vmcnt(5)
	v_mul_f32_e32 v6, v64, v28
	v_fmac_f32_e32 v66, v65, v8
	v_fma_f32 v65, v50, v27, -v6
	ds_read_b32 v6, v18
	v_mul_f32_e32 v68, v50, v28
	v_fmac_f32_e32 v68, v64, v27
	ds_read2_b32 v[49:50], v10 offset0:48 offset1:160
	ds_read_b32 v64, v39
	s_waitcnt lgkmcnt(2)
	v_mul_f32_e32 v7, v6, v26
	v_fma_f32 v69, v67, v25, -v7
	v_mul_f32_e32 v67, v67, v26
	v_fmac_f32_e32 v67, v6, v25
	ds_read2_b32 v[6:7], v14 offset0:64 offset1:176
	s_waitcnt lgkmcnt(2)
	v_mul_f32_e32 v8, v50, v26
	v_fma_f32 v31, v33, v25, -v8
	v_mul_f32_e32 v33, v33, v26
	v_fmac_f32_e32 v33, v50, v25
	s_waitcnt lgkmcnt(0)
	v_mul_f32_e32 v50, v6, v28
	ds_read2_b32 v[8:9], v20 offset0:96 offset1:208
	v_fma_f32 v70, v44, v27, -v50
	ds_read2_b32 v[50:51], v22 offset1:112
	v_mul_f32_e32 v44, v44, v28
	v_fmac_f32_e32 v44, v6, v27
	s_waitcnt lgkmcnt(1)
	v_mul_f32_e32 v6, v8, v26
	v_fma_f32 v78, v54, v25, -v6
	s_waitcnt lgkmcnt(0)
	v_mul_f32_e32 v6, v50, v28
	v_fma_f32 v79, v56, v27, -v6
	v_mul_f32_e32 v56, v56, v28
	s_waitcnt vmcnt(4)
	v_mul_f32_e32 v6, v51, v19
	v_fmac_f32_e32 v56, v50, v27
	s_waitcnt vmcnt(3)
	v_fma_f32 v50, v57, v29, -v6
	v_mul_f32_e32 v19, v57, v19
	v_mul_f32_e32 v6, v7, v30
	v_fmac_f32_e32 v19, v51, v29
	v_mul_f32_e32 v29, v45, v30
	s_waitcnt vmcnt(2)
	v_fma_f32 v45, v45, v59, -v6
	v_mul_f32_e32 v6, v9, v58
	v_mul_f32_e32 v51, v55, v58
	s_waitcnt vmcnt(1)
	v_fma_f32 v55, v55, v60, -v6
	v_fmac_f32_e32 v51, v9, v60
	v_mul_f32_e32 v6, v62, v61
	v_mul_f32_e32 v9, v48, v61
	v_fmac_f32_e32 v29, v7, v59
	s_waitcnt vmcnt(0)
	v_fma_f32 v48, v48, v21, -v6
	v_fmac_f32_e32 v9, v62, v21
	v_add_f32_e32 v7, v31, v70
	v_lshrrev_b32_e32 v21, 5, v42
	v_mul_f32_e32 v54, v54, v26
	v_add_f32_e32 v6, v35, v31
	v_fmac_f32_e32 v35, -0.5, v7
	v_mul_u32_u24_e32 v21, 0x60, v21
	v_fmac_f32_e32 v54, v8, v25
	v_sub_f32_e32 v7, v33, v44
	v_mov_b32_e32 v8, v35
	v_or_b32_e32 v21, v21, v13
	v_add_f32_e32 v6, v6, v70
	v_fmac_f32_e32 v8, 0x3f5db3d7, v7
	v_lshl_add_u32 v21, v21, 2, v5
	ds_read2_b32 v[25:26], v36 offset0:112 offset1:224
	ds_read2_b32 v[27:28], v12 offset0:80 offset1:192
	s_waitcnt lgkmcnt(0)
	s_barrier
	ds_write2_b32 v21, v6, v8 offset1:32
	v_lshrrev_b32_e32 v6, 5, v0
	v_add_f32_e32 v8, v48, v45
	v_mul_u32_u24_e32 v6, 0x60, v6
	v_fma_f32 v8, -0.5, v8, v46
	v_fmac_f32_e32 v35, 0xbf5db3d7, v7
	v_or_b32_e32 v6, v6, v17
	v_add_f32_e32 v7, v46, v48
	v_sub_f32_e32 v17, v9, v29
	v_mov_b32_e32 v30, v8
	ds_write_b32 v21, v35 offset:256
	v_add_f32_e32 v7, v7, v45
	v_fmac_f32_e32 v30, 0x3f5db3d7, v17
	v_lshl_add_u32 v35, v6, 2, v5
	ds_write2_b32 v35, v7, v30 offset1:32
	v_fmac_f32_e32 v8, 0xbf5db3d7, v17
	v_add_f32_e32 v7, v69, v65
	v_lshrrev_b32_e32 v17, 5, v38
	v_add_f32_e32 v6, v47, v69
	v_fmac_f32_e32 v47, -0.5, v7
	v_mul_u32_u24_e32 v17, 0x60, v17
	ds_write_b32 v35, v8 offset:256
	v_sub_f32_e32 v7, v67, v68
	v_mov_b32_e32 v8, v47
	v_or_b32_e32 v17, v17, v13
	v_add_f32_e32 v6, v6, v65
	v_fmac_f32_e32 v8, 0x3f5db3d7, v7
	v_lshl_add_u32 v17, v17, 2, v5
	ds_write2_b32 v17, v6, v8 offset1:32
	v_lshrrev_b32_e32 v6, 5, v40
	v_add_f32_e32 v8, v23, v63
	v_mul_u32_u24_e32 v6, 0x60, v6
	v_fma_f32 v8, -0.5, v8, v52
	v_fmac_f32_e32 v47, 0xbf5db3d7, v7
	v_or_b32_e32 v6, v6, v11
	v_add_f32_e32 v7, v52, v23
	v_sub_f32_e32 v11, v37, v66
	v_mov_b32_e32 v30, v8
	v_add_f32_e32 v7, v7, v63
	v_fmac_f32_e32 v30, 0x3f5db3d7, v11
	v_lshl_add_u32 v46, v6, 2, v5
	ds_write_b32 v17, v47 offset:256
	ds_write2_b32 v46, v7, v30 offset1:32
	v_add_f32_e32 v7, v78, v79
	v_add_f32_e32 v6, v53, v78
	v_fmac_f32_e32 v53, -0.5, v7
	v_lshrrev_b32_e32 v7, 5, v41
	v_fmac_f32_e32 v8, 0xbf5db3d7, v11
	v_mul_u32_u24_e32 v7, 0x60, v7
	ds_write_b32 v46, v8 offset:256
	v_or_b32_e32 v7, v7, v13
	v_sub_f32_e32 v8, v54, v56
	v_mov_b32_e32 v11, v53
	v_add_f32_e32 v6, v6, v79
	v_fmac_f32_e32 v11, 0x3f5db3d7, v8
	v_lshl_add_u32 v13, v7, 2, v5
	v_add_f32_e32 v7, v55, v50
	ds_write2_b32 v13, v6, v11 offset1:32
	v_add_f32_e32 v6, v32, v55
	v_fmac_f32_e32 v32, -0.5, v7
	v_lshrrev_b32_e32 v7, 5, v24
	v_mul_u32_u24_e32 v7, 0x60, v7
	v_or_b32_e32 v7, v7, v15
	v_lshl_add_u32 v11, v7, 2, v5
	v_add_f32_e32 v5, v6, v50
	v_sub_f32_e32 v6, v51, v19
	v_mov_b32_e32 v7, v32
	v_fmac_f32_e32 v53, 0xbf5db3d7, v8
	v_fmac_f32_e32 v7, 0x3f5db3d7, v6
	ds_write_b32 v13, v53 offset:256
	ds_write2_b32 v11, v5, v7 offset1:32
	v_add_f32_e32 v5, v64, v33
	v_add_f32_e32 v15, v5, v44
	;; [unrolled: 1-line block ×3, first 2 shown]
	v_fmac_f32_e32 v64, -0.5, v5
	v_sub_f32_e32 v44, v31, v70
	v_mov_b32_e32 v47, v64
	v_fmac_f32_e32 v32, 0xbf5db3d7, v6
	v_fmac_f32_e32 v47, 0xbf5db3d7, v44
	ds_write_b32 v11, v32 offset:256
	s_waitcnt lgkmcnt(0)
	s_barrier
	ds_read_b32 v80, v39
	ds_read_b32 v52, v18
	ds_read2_b32 v[7:8], v10 offset0:48 offset1:160
	ds_read2_b32 v[70:71], v14 offset0:64 offset1:176
	;; [unrolled: 1-line block ×7, first 2 shown]
	ds_read2_b32 v[32:33], v22 offset1:112
	s_waitcnt lgkmcnt(0)
	s_barrier
	ds_write2_b32 v21, v15, v47 offset1:32
	v_add_f32_e32 v15, v25, v9
	v_add_f32_e32 v9, v9, v29
	v_fmac_f32_e32 v64, 0x3f5db3d7, v44
	v_fma_f32 v9, -0.5, v9, v25
	ds_write_b32 v21, v64 offset:256
	v_sub_f32_e32 v21, v48, v45
	v_mov_b32_e32 v25, v9
	v_add_f32_e32 v15, v15, v29
	v_fmac_f32_e32 v25, 0xbf5db3d7, v21
	ds_write2_b32 v35, v15, v25 offset1:32
	v_fmac_f32_e32 v9, 0x3f5db3d7, v21
	v_add_f32_e32 v15, v67, v68
	ds_write_b32 v35, v9 offset:256
	v_add_f32_e32 v9, v26, v67
	v_fmac_f32_e32 v26, -0.5, v15
	v_sub_f32_e32 v15, v69, v65
	v_mov_b32_e32 v21, v26
	v_add_f32_e32 v9, v9, v68
	v_fmac_f32_e32 v21, 0xbf5db3d7, v15
	v_fmac_f32_e32 v26, 0x3f5db3d7, v15
	v_add_f32_e32 v15, v37, v66
	ds_write2_b32 v17, v9, v21 offset1:32
	ds_write_b32 v17, v26 offset:256
	v_sub_f32_e32 v17, v23, v63
	v_fma_f32 v15, -0.5, v15, v27
	v_add_f32_e32 v9, v27, v37
	v_mov_b32_e32 v21, v15
	v_fmac_f32_e32 v15, 0x3f5db3d7, v17
	v_add_f32_e32 v9, v9, v66
	v_fmac_f32_e32 v21, 0xbf5db3d7, v17
	ds_write_b32 v46, v15 offset:256
	v_add_f32_e32 v15, v54, v56
	ds_write2_b32 v46, v9, v21 offset1:32
	v_add_f32_e32 v9, v28, v54
	v_fmac_f32_e32 v28, -0.5, v15
	v_sub_f32_e32 v15, v78, v79
	v_mov_b32_e32 v17, v28
	v_add_f32_e32 v9, v9, v56
	v_fmac_f32_e32 v17, 0xbf5db3d7, v15
	v_fmac_f32_e32 v28, 0x3f5db3d7, v15
	v_add_f32_e32 v15, v51, v19
	ds_write2_b32 v13, v9, v17 offset1:32
	v_add_f32_e32 v9, v49, v51
	v_fmac_f32_e32 v49, -0.5, v15
	v_add_f32_e32 v9, v9, v19
	v_sub_f32_e32 v15, v55, v50
	v_mov_b32_e32 v17, v49
	v_fmac_f32_e32 v17, 0xbf5db3d7, v15
	v_fmac_f32_e32 v49, 0x3f5db3d7, v15
	ds_write_b32 v13, v28 offset:256
	ds_write2_b32 v11, v9, v17 offset1:32
	ds_write_b32 v11, v49 offset:256
	v_mul_u32_u24_sdwa v9, v41, s0 dst_sel:DWORD dst_unused:UNUSED_PAD src0_sel:WORD_0 src1_sel:DWORD
	v_lshrrev_b32_e32 v35, 22, v9
	v_mul_lo_u16_e32 v9, 0x60, v35
	v_sub_u16_e32 v37, v41, v9
	v_lshlrev_b32_e32 v9, 4, v37
	s_waitcnt lgkmcnt(0)
	s_barrier
	global_load_dwordx4 v[44:47], v9, s[8:9] offset:752
	v_mul_u32_u24_sdwa v9, v24, s0 dst_sel:DWORD dst_unused:UNUSED_PAD src0_sel:WORD_0 src1_sel:DWORD
	v_lshrrev_b32_e32 v41, 22, v9
	v_mul_lo_u16_e32 v9, 0x60, v41
	v_sub_u16_e32 v78, v24, v9
	v_lshlrev_b32_e32 v9, 4, v78
	global_load_dwordx4 v[48:51], v9, s[8:9] offset:752
	v_mul_u32_u24_sdwa v9, v38, s0 dst_sel:DWORD dst_unused:UNUSED_PAD src0_sel:WORD_0 src1_sel:DWORD
	v_lshrrev_b32_e32 v79, 22, v9
	v_mul_lo_u16_e32 v9, 0x60, v79
	v_sub_u16_e32 v81, v38, v9
	v_lshlrev_b32_e32 v9, 4, v81
	;; [unrolled: 6-line block ×3, first 2 shown]
	s_movk_i32 s0, 0xab
	global_load_dwordx4 v[57:60], v9, s[8:9] offset:752
	v_mul_lo_u16_sdwa v9, v0, s0 dst_sel:DWORD dst_unused:UNUSED_PAD src0_sel:BYTE_0 src1_sel:DWORD
	v_lshrrev_b16_e32 v83, 14, v9
	v_mul_lo_u16_e32 v9, 0x60, v83
	v_sub_u16_e32 v84, v0, v9
	v_mov_b32_e32 v9, 4
	v_lshlrev_b32_sdwa v9, v9, v84 dst_sel:DWORD dst_unused:UNUSED_PAD src0_sel:DWORD src1_sel:BYTE_0
	s_movk_i32 s0, 0x60
	global_load_dwordx4 v[61:64], v9, s[8:9] offset:752
	v_add_u32_e32 v9, 0xffffffa0, v42
	v_cmp_gt_u32_e64 s[0:1], s0, v42
	v_cndmask_b32_e64 v9, v9, v42, s[0:1]
	v_lshlrev_b32_e32 v23, 1, v9
	v_mov_b32_e32 v24, 0
	v_lshlrev_b64 v[23:24], 3, v[23:24]
	v_mov_b32_e32 v11, s9
	v_add_co_u32_e64 v23, s[0:1], s8, v23
	v_addc_co_u32_e64 v24, s[0:1], v11, v24, s[0:1]
	global_load_dwordx4 v[66:69], v[23:24], off offset:752
	ds_read2_b32 v[19:20], v20 offset0:96 offset1:208
	ds_read2_b32 v[21:22], v22 offset1:112
	s_movk_i32 s0, 0x5f
	v_cmp_lt_u32_e64 s[0:1], s0, v42
	v_lshlrev_b32_e32 v9, 2, v9
	s_waitcnt vmcnt(5) lgkmcnt(1)
	v_mul_f32_e32 v11, v19, v45
	v_fma_f32 v26, v30, v44, -v11
	s_waitcnt lgkmcnt(0)
	v_mul_f32_e32 v11, v21, v47
	v_mul_f32_e32 v29, v30, v45
	v_fma_f32 v30, v32, v46, -v11
	v_fmac_f32_e32 v29, v19, v44
	s_waitcnt vmcnt(4)
	v_mul_f32_e32 v11, v20, v49
	v_fma_f32 v25, v31, v48, -v11
	v_mul_f32_e32 v11, v22, v51
	v_fma_f32 v28, v33, v50, -v11
	ds_read_b32 v11, v18
	v_mul_f32_e32 v27, v31, v49
	v_mul_f32_e32 v31, v33, v51
	ds_read2_b32 v[17:18], v34 offset0:32 offset1:144
	ds_read_b32 v33, v39
	ds_read2_b32 v[15:16], v16 offset0:16 offset1:240
	s_waitcnt vmcnt(3) lgkmcnt(3)
	v_mul_f32_e32 v13, v11, v54
	v_fma_f32 v44, v52, v53, -v13
	v_mul_f32_e32 v49, v52, v54
	ds_read2_b32 v[13:14], v14 offset0:64 offset1:176
	v_fmac_f32_e32 v49, v11, v53
	s_waitcnt lgkmcnt(3)
	v_mul_f32_e32 v11, v17, v56
	v_fmac_f32_e32 v31, v22, v50
	v_fma_f32 v50, v76, v55, -v11
	s_waitcnt vmcnt(2)
	v_mul_f32_e32 v11, v18, v60
	v_fma_f32 v45, v77, v59, -v11
	s_waitcnt lgkmcnt(1)
	v_mul_f32_e32 v11, v16, v58
	v_fma_f32 v51, v75, v57, -v11
	s_waitcnt vmcnt(1)
	v_mul_f32_e32 v11, v15, v62
	v_mul_f32_e32 v54, v76, v56
	v_fma_f32 v56, v74, v61, -v11
	s_waitcnt lgkmcnt(0)
	v_mul_f32_e32 v11, v14, v64
	v_mul_f32_e32 v53, v75, v58
	v_fma_f32 v58, v71, v63, -v11
	ds_read2_b32 v[10:11], v10 offset0:48 offset1:160
	v_mul_f32_e32 v32, v32, v47
	v_mul_f32_e32 v47, v77, v60
	v_fmac_f32_e32 v47, v18, v59
	v_mul_f32_e32 v59, v71, v64
	v_fmac_f32_e32 v59, v14, v63
	s_waitcnt vmcnt(0)
	v_mul_f32_e32 v64, v70, v69
	v_mul_f32_e32 v14, v13, v69
	v_fmac_f32_e32 v64, v13, v68
	s_waitcnt lgkmcnt(0)
	v_mul_f32_e32 v13, v11, v67
	v_fmac_f32_e32 v53, v16, v57
	v_mul_f32_e32 v57, v74, v62
	v_fma_f32 v62, v70, v68, -v14
	v_fma_f32 v63, v8, v66, -v13
	v_mul_f32_e32 v65, v8, v67
	v_fmac_f32_e32 v65, v11, v66
	v_add_f32_e32 v11, v63, v62
	v_add_f32_e32 v8, v80, v63
	v_fmac_f32_e32 v80, -0.5, v11
	v_mov_b32_e32 v11, 0x480
	v_cndmask_b32_e64 v11, 0, v11, s[0:1]
	v_add_u32_e32 v11, 0, v11
	v_sub_f32_e32 v13, v65, v64
	v_mov_b32_e32 v14, v80
	v_add3_u32 v52, v11, v9, v43
	v_add_f32_e32 v11, v8, v62
	v_fmac_f32_e32 v14, 0x3f5db3d7, v13
	ds_read2_b32 v[8:9], v12 offset0:80 offset1:192
	ds_read2_b32 v[23:24], v36 offset0:112 offset1:224
	s_waitcnt lgkmcnt(0)
	s_barrier
	ds_write2_b32 v52, v11, v14 offset1:96
	v_mov_b32_e32 v11, 2
	s_movk_i32 s0, 0x480
	v_lshlrev_b32_sdwa v11, v11, v84 dst_sel:DWORD dst_unused:UNUSED_PAD src0_sel:DWORD src1_sel:BYTE_0
	v_mad_u32_u24 v12, v83, s0, 0
	v_fmac_f32_e32 v54, v17, v55
	v_add3_u32 v55, v12, v11, v43
	v_add_f32_e32 v12, v56, v58
	v_fmac_f32_e32 v57, v15, v61
	v_fma_f32 v12, -0.5, v12, v72
	v_fmac_f32_e32 v80, 0xbf5db3d7, v13
	v_add_f32_e32 v11, v72, v56
	v_sub_f32_e32 v13, v57, v59
	v_mov_b32_e32 v14, v12
	v_add_f32_e32 v11, v11, v58
	v_fmac_f32_e32 v14, 0x3f5db3d7, v13
	v_fmac_f32_e32 v12, 0xbf5db3d7, v13
	v_add_f32_e32 v13, v44, v50
	ds_write_b32 v52, v80 offset:768
	ds_write2_b32 v55, v11, v14 offset1:96
	v_add_f32_e32 v11, v73, v44
	v_fmac_f32_e32 v73, -0.5, v13
	ds_write_b32 v55, v12 offset:768
	v_mad_u32_u24 v12, v79, s0, 0
	v_lshlrev_b32_e32 v13, 2, v81
	v_add3_u32 v60, v12, v13, v43
	v_sub_f32_e32 v12, v49, v54
	v_mov_b32_e32 v13, v73
	v_add_f32_e32 v11, v11, v50
	v_fmac_f32_e32 v13, 0x3f5db3d7, v12
	ds_write2_b32 v60, v11, v13 offset1:96
	v_fmac_f32_e32 v73, 0xbf5db3d7, v12
	v_mad_u32_u24 v11, v82, s0, 0
	v_lshlrev_b32_e32 v12, 2, v40
	v_add3_u32 v61, v11, v12, v43
	v_add_f32_e32 v12, v51, v45
	v_add_f32_e32 v11, v5, v51
	v_fma_f32 v5, -0.5, v12, v5
	v_sub_f32_e32 v12, v53, v47
	v_mov_b32_e32 v13, v5
	v_add_f32_e32 v11, v11, v45
	v_fmac_f32_e32 v13, 0x3f5db3d7, v12
	v_fmac_f32_e32 v5, 0xbf5db3d7, v12
	v_add_f32_e32 v12, v26, v30
	v_fmac_f32_e32 v32, v21, v46
	ds_write_b32 v60, v73 offset:768
	ds_write2_b32 v61, v11, v13 offset1:96
	v_add_f32_e32 v11, v6, v26
	v_fmac_f32_e32 v6, -0.5, v12
	ds_write_b32 v61, v5 offset:768
	v_mad_u32_u24 v5, v35, s0, 0
	v_lshlrev_b32_e32 v12, 2, v37
	v_add3_u32 v66, v5, v12, v43
	v_add_f32_e32 v5, v11, v30
	v_sub_f32_e32 v11, v29, v32
	v_mov_b32_e32 v12, v6
	v_fmac_f32_e32 v12, 0x3f5db3d7, v11
	ds_write2_b32 v66, v5, v12 offset1:96
	v_mad_u32_u24 v5, v41, s0, 0
	v_lshlrev_b32_e32 v12, 2, v78
	v_add3_u32 v67, v5, v12, v43
	v_add_f32_e32 v5, v25, v28
	v_fmac_f32_e32 v27, v20, v48
	v_fmac_f32_e32 v6, 0xbf5db3d7, v11
	v_add_f32_e32 v11, v7, v25
	v_fmac_f32_e32 v7, -0.5, v5
	v_sub_f32_e32 v12, v27, v31
	v_mov_b32_e32 v5, v7
	v_fmac_f32_e32 v5, 0x3f5db3d7, v12
	v_fmac_f32_e32 v7, 0xbf5db3d7, v12
	v_add_f32_e32 v35, v11, v28
	ds_write_b32 v66, v6 offset:768
	ds_write2_b32 v67, v35, v5 offset1:96
	ds_write_b32 v67, v7 offset:768
	s_waitcnt lgkmcnt(0)
	s_barrier
	v_add_u32_e32 v68, 0x100, v36
	v_add_u32_e32 v69, 0x600, v36
	;; [unrolled: 1-line block ×5, first 2 shown]
	ds_read_b32 v46, v39
	ds_read_b32 v48, v36 offset:7360
	ds_read2_b32 v[19:20], v68 offset0:48 offset1:224
	ds_read2_b32 v[11:12], v69 offset0:16 offset1:192
	;; [unrolled: 1-line block ×6, first 2 shown]
	v_cmp_gt_u32_e64 s[0:1], 64, v42
                                        ; implicit-def: $vgpr40
                                        ; implicit-def: $vgpr37
                                        ; implicit-def: $vgpr41
	s_and_saveexec_b64 s[4:5], s[0:1]
	s_cbranch_execz .LBB0_15
; %bb.14:
	ds_read_b32 v6, v36 offset:896
	ds_read_b32 v35, v36 offset:2048
	ds_read_b32 v5, v36 offset:3200
	ds_read_b32 v7, v36 offset:4352
	ds_read_b32 v40, v36 offset:5504
	ds_read_b32 v41, v36 offset:6656
	ds_read_b32 v37, v36 offset:7808
.LBB0_15:
	s_or_b64 exec, exec, s[4:5]
	v_add_f32_e32 v43, v33, v65
	v_add_f32_e32 v73, v43, v64
	;; [unrolled: 1-line block ×3, first 2 shown]
	v_fmac_f32_e32 v33, -0.5, v43
	v_sub_f32_e32 v43, v63, v62
	v_mov_b32_e32 v62, v33
	v_fmac_f32_e32 v62, 0xbf5db3d7, v43
	v_fmac_f32_e32 v33, 0x3f5db3d7, v43
	v_add_f32_e32 v43, v23, v57
	v_add_f32_e32 v63, v43, v59
	;; [unrolled: 1-line block ×3, first 2 shown]
	v_fma_f32 v23, -0.5, v43, v23
	v_sub_f32_e32 v43, v56, v58
	v_mov_b32_e32 v56, v23
	v_fmac_f32_e32 v56, 0xbf5db3d7, v43
	v_fmac_f32_e32 v23, 0x3f5db3d7, v43
	v_add_f32_e32 v43, v24, v49
	v_add_f32_e32 v57, v43, v54
	;; [unrolled: 1-line block ×3, first 2 shown]
	v_fmac_f32_e32 v24, -0.5, v43
	v_sub_f32_e32 v43, v44, v50
	v_mov_b32_e32 v44, v24
	v_fmac_f32_e32 v44, 0xbf5db3d7, v43
	v_fmac_f32_e32 v24, 0x3f5db3d7, v43
	v_add_f32_e32 v43, v8, v53
	v_add_f32_e32 v49, v43, v47
	;; [unrolled: 1-line block ×3, first 2 shown]
	v_fma_f32 v47, -0.5, v43, v8
	v_sub_f32_e32 v8, v51, v45
	v_mov_b32_e32 v45, v47
	v_fmac_f32_e32 v45, 0xbf5db3d7, v8
	v_fmac_f32_e32 v47, 0x3f5db3d7, v8
	v_add_f32_e32 v8, v9, v29
	v_add_f32_e32 v50, v8, v32
	;; [unrolled: 1-line block ×3, first 2 shown]
	v_fmac_f32_e32 v9, -0.5, v8
	v_sub_f32_e32 v8, v26, v30
	v_mov_b32_e32 v26, v9
	v_fmac_f32_e32 v26, 0xbf5db3d7, v8
	v_fmac_f32_e32 v9, 0x3f5db3d7, v8
	v_add_f32_e32 v8, v10, v27
	v_add_f32_e32 v27, v27, v31
	v_fmac_f32_e32 v10, -0.5, v27
	v_sub_f32_e32 v25, v25, v28
	v_mov_b32_e32 v43, v10
	v_add_f32_e32 v8, v8, v31
	v_fmac_f32_e32 v43, 0xbf5db3d7, v25
	v_fmac_f32_e32 v10, 0x3f5db3d7, v25
	s_waitcnt lgkmcnt(0)
	s_barrier
	ds_write2_b32 v52, v73, v62 offset1:96
	ds_write_b32 v52, v33 offset:768
	ds_write2_b32 v55, v63, v56 offset1:96
	ds_write_b32 v55, v23 offset:768
	;; [unrolled: 2-line block ×6, first 2 shown]
	s_waitcnt lgkmcnt(0)
	s_barrier
	ds_read2_b32 v[31:32], v68 offset0:48 offset1:224
	ds_read2_b32 v[23:24], v69 offset0:16 offset1:192
	;; [unrolled: 1-line block ×6, first 2 shown]
	ds_read_b32 v47, v39
	ds_read_b32 v49, v36 offset:7360
                                        ; implicit-def: $vgpr44
                                        ; implicit-def: $vgpr39
                                        ; implicit-def: $vgpr45
	s_and_saveexec_b64 s[4:5], s[0:1]
	s_cbranch_execz .LBB0_17
; %bb.16:
	ds_read_b32 v9, v36 offset:896
	ds_read_b32 v8, v36 offset:2048
	ds_read_b32 v43, v36 offset:3200
	ds_read_b32 v10, v36 offset:4352
	ds_read_b32 v44, v36 offset:5504
	ds_read_b32 v45, v36 offset:6656
	ds_read_b32 v39, v36 offset:7808
.LBB0_17:
	s_or_b64 exec, exec, s[4:5]
	s_and_saveexec_b64 s[4:5], vcc
	s_cbranch_execz .LBB0_20
; %bb.18:
	v_mul_u32_u24_e32 v0, 6, v0
	v_lshlrev_b32_e32 v0, 3, v0
	global_load_dwordx4 v[50:53], v0, s[8:9] offset:2288
	global_load_dwordx4 v[54:57], v0, s[8:9] offset:2320
	;; [unrolled: 1-line block ×3, first 2 shown]
	v_mul_u32_u24_e32 v62, 6, v42
	v_lshlrev_b32_e32 v74, 3, v62
	global_load_dwordx4 v[62:65], v74, s[8:9] offset:2288
	global_load_dwordx4 v[66:69], v74, s[8:9] offset:2320
	global_load_dwordx4 v[70:73], v74, s[8:9] offset:2304
	v_mul_lo_u32 v0, s3, v3
	v_mul_lo_u32 v36, s2, v4
	v_mad_u64_u32 v[3:4], s[2:3], s2, v3, 0
	s_mov_b32 s3, 0x3f5ff5aa
	s_mov_b32 s2, 0xbeae86e6
	v_add3_u32 v4, v4, v36, v0
	s_mov_b32 s4, 0xbf3bfb3b
	s_mov_b32 s5, 0x3f3bfb3b
	;; [unrolled: 1-line block ×3, first 2 shown]
	v_lshlrev_b64 v[3:4], 3, v[3:4]
	s_movk_i32 s10, 0x1000
	v_add_co_u32_e32 v3, vcc, s14, v3
	s_movk_i32 s7, 0x120
	s_waitcnt vmcnt(5) lgkmcnt(6)
	v_mul_f32_e32 v0, v23, v51
	s_waitcnt vmcnt(4) lgkmcnt(0)
	v_mul_f32_e32 v36, v49, v57
	s_waitcnt vmcnt(3)
	v_mul_f32_e32 v74, v25, v61
	v_mul_f32_e32 v75, v27, v59
	;; [unrolled: 1-line block ×10, first 2 shown]
	v_fma_f32 v0, v11, v50, -v0
	v_fma_f32 v11, v48, v56, -v36
	;; [unrolled: 1-line block ×6, first 2 shown]
	v_fmac_f32_e32 v57, v49, v56
	v_fmac_f32_e32 v51, v23, v50
	;; [unrolled: 1-line block ×6, first 2 shown]
	v_sub_f32_e32 v23, v0, v11
	v_sub_f32_e32 v25, v13, v15
	v_add_f32_e32 v0, v0, v11
	v_add_f32_e32 v11, v13, v15
	;; [unrolled: 1-line block ×3, first 2 shown]
	v_sub_f32_e32 v27, v17, v21
	v_add_f32_e32 v29, v51, v57
	v_add_f32_e32 v36, v53, v55
	v_sub_f32_e32 v15, v51, v57
	v_sub_f32_e32 v17, v61, v59
	;; [unrolled: 1-line block ×3, first 2 shown]
	v_add_f32_e32 v55, v0, v13
	v_add_f32_e32 v33, v61, v59
	v_sub_f32_e32 v48, v25, v27
	v_add_f32_e32 v51, v29, v36
	v_sub_f32_e32 v53, v0, v11
	v_sub_f32_e32 v54, v11, v13
	v_sub_f32_e32 v56, v15, v17
	v_sub_f32_e32 v57, v17, v21
	v_add_f32_e32 v17, v17, v21
	v_add_f32_e32 v11, v11, v55
	v_sub_f32_e32 v50, v29, v33
	v_sub_f32_e32 v49, v33, v36
	v_mul_f32_e32 v58, 0xbf08b237, v48
	v_add_f32_e32 v33, v33, v51
	v_add_f32_e32 v17, v15, v17
	;; [unrolled: 1-line block ×3, first 2 shown]
	v_sub_f32_e32 v15, v21, v15
	v_sub_f32_e32 v52, v23, v25
	v_add_f32_e32 v25, v25, v27
	v_mul_f32_e32 v60, 0x3d64c772, v49
	v_mul_f32_e32 v61, 0x3f4a47b2, v53
	;; [unrolled: 1-line block ×4, first 2 shown]
	v_add_f32_e32 v49, v31, v33
	v_mov_b32_e32 v75, v48
	v_sub_f32_e32 v0, v13, v0
	v_mul_f32_e32 v21, 0x3f5ff5aa, v15
	v_add_f32_e32 v25, v23, v25
	v_mov_b32_e32 v74, v58
	v_mov_b32_e32 v51, v60
	;; [unrolled: 1-line block ×5, first 2 shown]
	v_fmac_f32_e32 v75, 0xbf955555, v11
	v_sub_f32_e32 v23, v27, v23
	v_fma_f32 v13, v0, s4, -v61
	v_fma_f32 v21, v56, s2, -v21
	v_fma_f32 v15, v15, s3, -v57
	v_fma_f32 v0, v0, s5, -v54
	v_mul_f32_e32 v59, 0x3f4a47b2, v50
	v_fmac_f32_e32 v74, 0x3eae86e6, v52
	v_fmac_f32_e32 v51, 0x3f4a47b2, v50
	;; [unrolled: 1-line block ×5, first 2 shown]
	v_mul_f32_e32 v27, 0x3f5ff5aa, v23
	v_sub_f32_e32 v29, v36, v29
	v_add_f32_e32 v13, v13, v75
	v_fmac_f32_e32 v21, 0x3ee1c552, v17
	v_fmac_f32_e32 v15, 0x3ee1c552, v17
	v_add_f32_e32 v0, v0, v75
	v_fmac_f32_e32 v74, 0x3ee1c552, v25
	v_fmac_f32_e32 v19, 0x3ee1c552, v17
	v_add_f32_e32 v11, v51, v55
	v_add_f32_e32 v31, v31, v75
	v_fma_f32 v27, v52, s2, -v27
	v_fma_f32 v33, v29, s4, -v59
	v_sub_f32_e32 v52, v13, v21
	v_fma_f32 v23, v23, s3, -v58
	v_add_f32_e32 v54, v15, v0
	v_sub_f32_e32 v56, v0, v15
	v_add_f32_e32 v58, v21, v13
	s_waitcnt vmcnt(0)
	v_mul_f32_e32 v13, v28, v73
	v_mul_f32_e32 v15, v24, v65
	v_add_f32_e32 v51, v74, v11
	v_sub_f32_e32 v50, v31, v19
	v_fmac_f32_e32 v27, 0x3ee1c552, v25
	v_add_f32_e32 v33, v33, v55
	v_fma_f32 v29, v29, s5, -v60
	v_fmac_f32_e32 v23, 0x3ee1c552, v25
	v_sub_f32_e32 v61, v11, v74
	v_add_f32_e32 v60, v19, v31
	v_mul_f32_e32 v0, v32, v63
	v_mul_f32_e32 v11, v34, v69
	v_fma_f32 v19, v16, v72, -v13
	v_mul_f32_e32 v13, v30, v71
	v_fma_f32 v25, v12, v64, -v15
	v_mul_f32_e32 v15, v26, v67
	v_add_f32_e32 v53, v27, v33
	v_add_f32_e32 v29, v29, v55
	v_sub_f32_e32 v59, v33, v27
	v_fma_f32 v0, v20, v62, -v0
	v_fma_f32 v11, v22, v68, -v11
	;; [unrolled: 1-line block ×4, first 2 shown]
	v_mul_f32_e32 v14, v14, v67
	v_sub_f32_e32 v55, v29, v23
	v_add_f32_e32 v57, v23, v29
	v_sub_f32_e32 v17, v0, v11
	v_sub_f32_e32 v13, v19, v21
	;; [unrolled: 1-line block ×3, first 2 shown]
	v_mul_f32_e32 v18, v18, v71
	v_mul_f32_e32 v16, v16, v73
	v_fmac_f32_e32 v14, v26, v66
	v_mul_f32_e32 v26, v12, v65
	v_sub_f32_e32 v23, v17, v13
	v_sub_f32_e32 v15, v13, v29
	v_add_f32_e32 v13, v13, v29
	v_fmac_f32_e32 v18, v30, v70
	v_fmac_f32_e32 v16, v28, v72
	;; [unrolled: 1-line block ×3, first 2 shown]
	v_add_f32_e32 v36, v17, v13
	v_mul_f32_e32 v22, v22, v69
	v_mul_f32_e32 v20, v20, v63
	v_add_f32_e32 v13, v16, v18
	v_add_f32_e32 v24, v26, v14
	v_fmac_f32_e32 v22, v34, v68
	v_fmac_f32_e32 v20, v32, v62
	v_sub_f32_e32 v12, v13, v24
	v_add_f32_e32 v32, v20, v22
	v_mul_f32_e32 v30, 0x3d64c772, v12
	v_mul_f32_e32 v31, 0xbf08b237, v15
	v_sub_f32_e32 v15, v32, v13
	v_mov_b32_e32 v12, v30
	v_mul_f32_e32 v28, 0x3f4a47b2, v15
	v_fmac_f32_e32 v12, 0x3f4a47b2, v15
	v_add_f32_e32 v15, v32, v24
	v_add_f32_e32 v15, v13, v15
	;; [unrolled: 1-line block ×6, first 2 shown]
	v_mov_b32_e32 v34, v13
	v_sub_f32_e32 v25, v11, v21
	v_fmac_f32_e32 v34, 0xbf955555, v15
	v_mul_f32_e32 v25, 0x3d64c772, v25
	v_add_f32_e32 v47, v12, v34
	v_sub_f32_e32 v12, v0, v11
	v_mov_b32_e32 v27, v25
	v_mul_f32_e32 v19, 0x3f4a47b2, v12
	v_fmac_f32_e32 v27, 0x3f4a47b2, v12
	v_add_f32_e32 v12, v0, v21
	v_sub_f32_e32 v20, v20, v22
	v_sub_f32_e32 v16, v16, v18
	;; [unrolled: 1-line block ×3, first 2 shown]
	v_add_f32_e32 v11, v11, v12
	v_sub_f32_e32 v14, v16, v22
	v_sub_f32_e32 v29, v29, v17
	v_mov_b32_e32 v33, v31
	v_add_f32_e32 v12, v46, v11
	v_sub_f32_e32 v18, v20, v16
	v_mul_f32_e32 v26, 0xbf08b237, v14
	v_add_f32_e32 v14, v16, v22
	v_mul_f32_e32 v16, 0x3f5ff5aa, v29
	v_sub_f32_e32 v24, v24, v32
	v_fmac_f32_e32 v33, 0x3eae86e6, v23
	v_mov_b32_e32 v46, v12
	v_fma_f32 v23, v23, s2, -v16
	v_fma_f32 v16, v24, s4, -v28
	v_sub_f32_e32 v0, v21, v0
	v_fmac_f32_e32 v46, 0xbf955555, v11
	v_add_f32_e32 v62, v20, v14
	v_add_f32_e32 v28, v16, v34
	v_fma_f32 v16, v0, s4, -v19
	v_sub_f32_e32 v20, v22, v20
	v_add_f32_e32 v11, v27, v46
	v_mov_b32_e32 v27, v26
	v_add_f32_e32 v32, v16, v46
	v_mul_f32_e32 v16, 0x3f5ff5aa, v20
	v_fma_f32 v20, v20, s3, -v26
	v_fma_f32 v0, v0, s5, -v25
	v_fmac_f32_e32 v27, 0x3eae86e6, v18
	v_fma_f32 v22, v18, s2, -v16
	v_fma_f32 v18, v24, s5, -v30
	v_fmac_f32_e32 v20, 0x3ee1c552, v62
	v_add_f32_e32 v0, v0, v46
	v_add_f32_e32 v21, v18, v34
	;; [unrolled: 1-line block ×3, first 2 shown]
	v_sub_f32_e32 v20, v0, v20
	v_mul_hi_u32 v0, v42, s6
	v_fma_f32 v24, v29, s3, -v31
	v_fmac_f32_e32 v27, 0x3ee1c552, v62
	v_fmac_f32_e32 v24, 0x3ee1c552, v36
	v_lshrrev_b32_e32 v0, 6, v0
	v_mul_u32_u24_e32 v0, 0x120, v0
	v_sub_u32_e32 v26, v42, v0
	v_mov_b32_e32 v0, s15
	v_sub_f32_e32 v14, v11, v27
	v_sub_f32_e32 v19, v21, v24
	v_add_f32_e32 v21, v24, v21
	v_add_f32_e32 v24, v27, v11
	v_addc_co_u32_e32 v11, vcc, v0, v4, vcc
	v_lshlrev_b64 v[0:1], 3, v[1:2]
	v_fmac_f32_e32 v33, 0x3ee1c552, v36
	v_add_co_u32_e32 v4, vcc, v3, v0
	v_addc_co_u32_e32 v11, vcc, v11, v1, vcc
	v_lshlrev_b32_e32 v0, 3, v26
	v_add_co_u32_e32 v2, vcc, v4, v0
	v_addc_co_u32_e32 v3, vcc, 0, v11, vcc
	v_fmac_f32_e32 v23, 0x3ee1c552, v36
	v_fmac_f32_e32 v22, 0x3ee1c552, v62
	v_sub_f32_e32 v25, v47, v33
	global_store_dwordx2 v[2:3], v[12:13], off
	global_store_dwordx2 v[2:3], v[24:25], off offset:2304
	v_add_co_u32_e32 v12, vcc, s10, v2
	v_add_f32_e32 v17, v23, v28
	v_sub_f32_e32 v16, v32, v22
	v_sub_f32_e32 v23, v28, v23
	v_add_f32_e32 v22, v22, v32
	v_addc_co_u32_e32 v13, vcc, 0, v3, vcc
	s_movk_i32 s10, 0x2000
	global_store_dwordx2 v[12:13], v[22:23], off offset:512
	global_store_dwordx2 v[12:13], v[20:21], off offset:2816
	v_add_co_u32_e32 v12, vcc, s10, v2
	v_addc_co_u32_e32 v13, vcc, 0, v3, vcc
	v_add_u32_e32 v0, 0x70, v42
	global_store_dwordx2 v[12:13], v[18:19], off offset:1024
	global_store_dwordx2 v[12:13], v[16:17], off offset:3328
	v_mul_hi_u32 v12, v0, s6
	s_movk_i32 s10, 0x3000
	v_add_co_u32_e32 v2, vcc, s10, v2
	v_add_f32_e32 v15, v33, v47
	v_addc_co_u32_e32 v3, vcc, 0, v3, vcc
	global_store_dwordx2 v[2:3], v[14:15], off offset:1536
	v_lshrrev_b32_e32 v2, 6, v12
	v_mul_u32_u24_e32 v3, 0x120, v2
	v_sub_u32_e32 v0, v0, v3
	s_movk_i32 s6, 0x7e0
	v_mov_b32_e32 v1, 0
	v_mad_u32_u24 v0, v2, s6, v0
	v_lshlrev_b64 v[2:3], 3, v[0:1]
	v_add_co_u32_e32 v2, vcc, v4, v2
	v_addc_co_u32_e32 v3, vcc, v11, v3, vcc
	global_store_dwordx2 v[2:3], v[48:49], off
	v_add_u32_e32 v2, 0x120, v0
	v_mov_b32_e32 v3, v1
	v_lshlrev_b64 v[2:3], 3, v[2:3]
	v_add_co_u32_e32 v2, vcc, v4, v2
	v_addc_co_u32_e32 v3, vcc, v11, v3, vcc
	global_store_dwordx2 v[2:3], v[60:61], off
	v_add_u32_e32 v2, 0x240, v0
	v_mov_b32_e32 v3, v1
	v_lshlrev_b64 v[2:3], 3, v[2:3]
	v_add_co_u32_e32 v2, vcc, v4, v2
	v_addc_co_u32_e32 v3, vcc, v11, v3, vcc
	global_store_dwordx2 v[2:3], v[58:59], off
	v_add_u32_e32 v2, 0x360, v0
	v_mov_b32_e32 v3, v1
	v_lshlrev_b64 v[2:3], 3, v[2:3]
	v_add_co_u32_e32 v2, vcc, v4, v2
	v_addc_co_u32_e32 v3, vcc, v11, v3, vcc
	global_store_dwordx2 v[2:3], v[56:57], off
	v_add_u32_e32 v2, 0x480, v0
	v_mov_b32_e32 v3, v1
	v_lshlrev_b64 v[2:3], 3, v[2:3]
	v_add_co_u32_e32 v2, vcc, v4, v2
	v_addc_co_u32_e32 v3, vcc, v11, v3, vcc
	global_store_dwordx2 v[2:3], v[54:55], off
	v_add_u32_e32 v2, 0x5a0, v0
	v_mov_b32_e32 v3, v1
	v_lshlrev_b64 v[2:3], 3, v[2:3]
	v_add_u32_e32 v0, 0x6c0, v0
	v_add_co_u32_e32 v2, vcc, v4, v2
	v_addc_co_u32_e32 v3, vcc, v11, v3, vcc
	global_store_dwordx2 v[2:3], v[52:53], off
	v_lshlrev_b64 v[2:3], 3, v[0:1]
	v_add_co_u32_e32 v2, vcc, v4, v2
	v_addc_co_u32_e32 v3, vcc, v11, v3, vcc
	global_store_dwordx2 v[2:3], v[50:51], off
	v_add_u32_e32 v2, 0xe0, v42
	v_cmp_gt_u32_e32 vcc, s7, v2
	s_and_b64 exec, exec, vcc
	s_cbranch_execz .LBB0_20
; %bb.19:
	v_subrev_u32_e32 v0, 64, v42
	v_cndmask_b32_e64 v0, v0, v38, s[0:1]
	v_mul_i32_i24_e32 v0, 6, v0
	v_lshlrev_b64 v[12:13], 3, v[0:1]
	v_mov_b32_e32 v0, s9
	v_add_co_u32_e32 v24, vcc, s8, v12
	v_addc_co_u32_e32 v25, vcc, v0, v13, vcc
	global_load_dwordx4 v[12:15], v[24:25], off offset:2288
	global_load_dwordx4 v[16:19], v[24:25], off offset:2304
	;; [unrolled: 1-line block ×3, first 2 shown]
	s_waitcnt vmcnt(2)
	v_mul_f32_e32 v0, v8, v13
	v_mul_f32_e32 v3, v35, v13
	v_mul_f32_e32 v13, v43, v15
	v_mul_f32_e32 v15, v5, v15
	s_waitcnt vmcnt(1)
	v_mul_f32_e32 v24, v10, v17
	v_mul_f32_e32 v17, v7, v17
	v_mul_f32_e32 v25, v44, v19
	v_mul_f32_e32 v19, v40, v19
	s_waitcnt vmcnt(0)
	v_mul_f32_e32 v26, v45, v21
	v_mul_f32_e32 v21, v41, v21
	v_mul_f32_e32 v27, v39, v23
	v_mul_f32_e32 v23, v37, v23
	v_fma_f32 v0, v35, v12, -v0
	v_fmac_f32_e32 v3, v8, v12
	v_fma_f32 v5, v5, v14, -v13
	v_fmac_f32_e32 v15, v43, v14
	;; [unrolled: 2-line block ×6, first 2 shown]
	v_add_f32_e32 v13, v0, v12
	v_add_f32_e32 v14, v3, v23
	v_sub_f32_e32 v0, v0, v12
	v_sub_f32_e32 v3, v3, v23
	v_add_f32_e32 v12, v5, v10
	v_add_f32_e32 v16, v15, v21
	v_sub_f32_e32 v5, v5, v10
	v_sub_f32_e32 v10, v15, v21
	v_add_f32_e32 v15, v7, v8
	v_add_f32_e32 v18, v17, v19
	v_sub_f32_e32 v7, v8, v7
	v_sub_f32_e32 v8, v19, v17
	v_add_f32_e32 v17, v12, v13
	v_add_f32_e32 v19, v16, v14
	v_sub_f32_e32 v20, v12, v13
	v_sub_f32_e32 v21, v16, v14
	v_sub_f32_e32 v13, v13, v15
	v_sub_f32_e32 v14, v14, v18
	;; [unrolled: 1-line block ×4, first 2 shown]
	v_add_f32_e32 v22, v7, v5
	v_add_f32_e32 v23, v8, v10
	v_sub_f32_e32 v24, v7, v5
	v_sub_f32_e32 v25, v8, v10
	;; [unrolled: 1-line block ×6, first 2 shown]
	v_add_f32_e32 v15, v15, v17
	v_add_f32_e32 v17, v18, v19
	;; [unrolled: 1-line block ×4, first 2 shown]
	v_mul_f32_e32 v13, 0x3f4a47b2, v13
	v_mul_f32_e32 v14, 0x3f4a47b2, v14
	v_mul_f32_e32 v18, 0x3d64c772, v12
	v_mul_f32_e32 v19, 0x3d64c772, v16
	v_mul_f32_e32 v22, 0xbf08b237, v24
	v_mul_f32_e32 v23, 0xbf08b237, v25
	v_mul_f32_e32 v24, 0x3f5ff5aa, v26
	v_mul_f32_e32 v25, 0x3f5ff5aa, v10
	v_add_f32_e32 v5, v6, v15
	v_add_f32_e32 v6, v9, v17
	v_fma_f32 v9, v20, s5, -v18
	v_fma_f32 v18, v21, s5, -v19
	;; [unrolled: 1-line block ×3, first 2 shown]
	v_fmac_f32_e32 v13, 0x3d64c772, v12
	v_fma_f32 v12, v21, s4, -v14
	v_fma_f32 v20, v10, s3, -v23
	v_fmac_f32_e32 v23, 0x3eae86e6, v8
	v_fma_f32 v21, v7, s2, -v24
	v_fma_f32 v24, v8, s2, -v25
	v_fmac_f32_e32 v23, 0x3ee1c552, v3
	v_fmac_f32_e32 v20, 0x3ee1c552, v3
	;; [unrolled: 1-line block ×3, first 2 shown]
	v_mov_b32_e32 v3, v1
	v_lshlrev_b64 v[2:3], 3, v[2:3]
	v_fmac_f32_e32 v14, 0x3d64c772, v16
	v_fma_f32 v16, v26, s3, -v22
	v_fmac_f32_e32 v22, 0x3eae86e6, v7
	v_add_co_u32_e32 v2, vcc, v4, v2
	v_fmac_f32_e32 v22, 0x3ee1c552, v0
	v_fmac_f32_e32 v16, 0x3ee1c552, v0
	;; [unrolled: 1-line block ×3, first 2 shown]
	v_addc_co_u32_e32 v3, vcc, v11, v3, vcc
	v_add_u32_e32 v0, 0x200, v42
	v_mov_b32_e32 v7, v5
	v_mov_b32_e32 v8, v6
	global_store_dwordx2 v[2:3], v[5:6], off
	v_lshlrev_b64 v[2:3], 3, v[0:1]
	v_fmac_f32_e32 v7, 0xbf955555, v15
	v_fmac_f32_e32 v8, 0xbf955555, v17
	v_add_f32_e32 v25, v13, v7
	v_add_f32_e32 v26, v14, v8
	v_add_co_u32_e32 v2, vcc, v4, v2
	v_add_f32_e32 v14, v9, v7
	v_add_f32_e32 v15, v18, v8
	;; [unrolled: 1-line block ×5, first 2 shown]
	v_sub_f32_e32 v8, v26, v22
	v_addc_co_u32_e32 v3, vcc, v11, v3, vcc
	v_add_u32_e32 v0, 0x320, v42
	global_store_dwordx2 v[2:3], v[7:8], off
	v_lshlrev_b64 v[2:3], 3, v[0:1]
	v_add_f32_e32 v9, v24, v17
	v_add_co_u32_e32 v2, vcc, v4, v2
	v_sub_f32_e32 v10, v18, v21
	v_addc_co_u32_e32 v3, vcc, v11, v3, vcc
	v_add_u32_e32 v0, 0x440, v42
	global_store_dwordx2 v[2:3], v[9:10], off
	v_lshlrev_b64 v[2:3], 3, v[0:1]
	v_sub_f32_e32 v12, v14, v20
	v_add_co_u32_e32 v2, vcc, v4, v2
	v_add_f32_e32 v13, v16, v15
	v_addc_co_u32_e32 v3, vcc, v11, v3, vcc
	v_add_u32_e32 v0, 0x560, v42
	global_store_dwordx2 v[2:3], v[12:13], off
	v_lshlrev_b64 v[2:3], 3, v[0:1]
	v_add_f32_e32 v14, v20, v14
	v_add_co_u32_e32 v2, vcc, v4, v2
	v_sub_f32_e32 v15, v15, v16
	v_addc_co_u32_e32 v3, vcc, v11, v3, vcc
	v_add_u32_e32 v0, 0x680, v42
	global_store_dwordx2 v[2:3], v[14:15], off
	v_lshlrev_b64 v[2:3], 3, v[0:1]
	v_add_u32_e32 v0, 0x7a0, v42
	v_add_co_u32_e32 v2, vcc, v4, v2
	v_lshlrev_b64 v[0:1], 3, v[0:1]
	v_addc_co_u32_e32 v3, vcc, v11, v3, vcc
	v_add_co_u32_e32 v0, vcc, v4, v0
	v_sub_f32_e32 v16, v17, v24
	v_add_f32_e32 v17, v21, v18
	v_sub_f32_e32 v18, v25, v23
	v_add_f32_e32 v19, v22, v26
	v_addc_co_u32_e32 v1, vcc, v11, v1, vcc
	global_store_dwordx2 v[2:3], v[16:17], off
	global_store_dwordx2 v[0:1], v[18:19], off
.LBB0_20:
	s_endpgm
	.section	.rodata,"a",@progbits
	.p2align	6, 0x0
	.amdhsa_kernel fft_rtc_fwd_len2016_factors_2_2_2_2_2_3_3_7_wgs_224_tpt_112_halfLds_sp_op_CI_CI_unitstride_sbrr_dirReg
		.amdhsa_group_segment_fixed_size 0
		.amdhsa_private_segment_fixed_size 0
		.amdhsa_kernarg_size 104
		.amdhsa_user_sgpr_count 6
		.amdhsa_user_sgpr_private_segment_buffer 1
		.amdhsa_user_sgpr_dispatch_ptr 0
		.amdhsa_user_sgpr_queue_ptr 0
		.amdhsa_user_sgpr_kernarg_segment_ptr 1
		.amdhsa_user_sgpr_dispatch_id 0
		.amdhsa_user_sgpr_flat_scratch_init 0
		.amdhsa_user_sgpr_private_segment_size 0
		.amdhsa_uses_dynamic_stack 0
		.amdhsa_system_sgpr_private_segment_wavefront_offset 0
		.amdhsa_system_sgpr_workgroup_id_x 1
		.amdhsa_system_sgpr_workgroup_id_y 0
		.amdhsa_system_sgpr_workgroup_id_z 0
		.amdhsa_system_sgpr_workgroup_info 0
		.amdhsa_system_vgpr_workitem_id 0
		.amdhsa_next_free_vgpr 85
		.amdhsa_next_free_sgpr 28
		.amdhsa_reserve_vcc 1
		.amdhsa_reserve_flat_scratch 0
		.amdhsa_float_round_mode_32 0
		.amdhsa_float_round_mode_16_64 0
		.amdhsa_float_denorm_mode_32 3
		.amdhsa_float_denorm_mode_16_64 3
		.amdhsa_dx10_clamp 1
		.amdhsa_ieee_mode 1
		.amdhsa_fp16_overflow 0
		.amdhsa_exception_fp_ieee_invalid_op 0
		.amdhsa_exception_fp_denorm_src 0
		.amdhsa_exception_fp_ieee_div_zero 0
		.amdhsa_exception_fp_ieee_overflow 0
		.amdhsa_exception_fp_ieee_underflow 0
		.amdhsa_exception_fp_ieee_inexact 0
		.amdhsa_exception_int_div_zero 0
	.end_amdhsa_kernel
	.text
.Lfunc_end0:
	.size	fft_rtc_fwd_len2016_factors_2_2_2_2_2_3_3_7_wgs_224_tpt_112_halfLds_sp_op_CI_CI_unitstride_sbrr_dirReg, .Lfunc_end0-fft_rtc_fwd_len2016_factors_2_2_2_2_2_3_3_7_wgs_224_tpt_112_halfLds_sp_op_CI_CI_unitstride_sbrr_dirReg
                                        ; -- End function
	.section	.AMDGPU.csdata,"",@progbits
; Kernel info:
; codeLenInByte = 12044
; NumSgprs: 32
; NumVgprs: 85
; ScratchSize: 0
; MemoryBound: 0
; FloatMode: 240
; IeeeMode: 1
; LDSByteSize: 0 bytes/workgroup (compile time only)
; SGPRBlocks: 3
; VGPRBlocks: 21
; NumSGPRsForWavesPerEU: 32
; NumVGPRsForWavesPerEU: 85
; Occupancy: 2
; WaveLimiterHint : 1
; COMPUTE_PGM_RSRC2:SCRATCH_EN: 0
; COMPUTE_PGM_RSRC2:USER_SGPR: 6
; COMPUTE_PGM_RSRC2:TRAP_HANDLER: 0
; COMPUTE_PGM_RSRC2:TGID_X_EN: 1
; COMPUTE_PGM_RSRC2:TGID_Y_EN: 0
; COMPUTE_PGM_RSRC2:TGID_Z_EN: 0
; COMPUTE_PGM_RSRC2:TIDIG_COMP_CNT: 0
	.type	__hip_cuid_5a64e3359f0a2bd5,@object ; @__hip_cuid_5a64e3359f0a2bd5
	.section	.bss,"aw",@nobits
	.globl	__hip_cuid_5a64e3359f0a2bd5
__hip_cuid_5a64e3359f0a2bd5:
	.byte	0                               ; 0x0
	.size	__hip_cuid_5a64e3359f0a2bd5, 1

	.ident	"AMD clang version 19.0.0git (https://github.com/RadeonOpenCompute/llvm-project roc-6.4.0 25133 c7fe45cf4b819c5991fe208aaa96edf142730f1d)"
	.section	".note.GNU-stack","",@progbits
	.addrsig
	.addrsig_sym __hip_cuid_5a64e3359f0a2bd5
	.amdgpu_metadata
---
amdhsa.kernels:
  - .args:
      - .actual_access:  read_only
        .address_space:  global
        .offset:         0
        .size:           8
        .value_kind:     global_buffer
      - .offset:         8
        .size:           8
        .value_kind:     by_value
      - .actual_access:  read_only
        .address_space:  global
        .offset:         16
        .size:           8
        .value_kind:     global_buffer
      - .actual_access:  read_only
        .address_space:  global
        .offset:         24
        .size:           8
        .value_kind:     global_buffer
      - .actual_access:  read_only
        .address_space:  global
        .offset:         32
        .size:           8
        .value_kind:     global_buffer
      - .offset:         40
        .size:           8
        .value_kind:     by_value
      - .actual_access:  read_only
        .address_space:  global
        .offset:         48
        .size:           8
        .value_kind:     global_buffer
      - .actual_access:  read_only
        .address_space:  global
        .offset:         56
        .size:           8
        .value_kind:     global_buffer
      - .offset:         64
        .size:           4
        .value_kind:     by_value
      - .actual_access:  read_only
        .address_space:  global
        .offset:         72
        .size:           8
        .value_kind:     global_buffer
      - .actual_access:  read_only
        .address_space:  global
        .offset:         80
        .size:           8
        .value_kind:     global_buffer
      - .actual_access:  read_only
        .address_space:  global
        .offset:         88
        .size:           8
        .value_kind:     global_buffer
      - .actual_access:  write_only
        .address_space:  global
        .offset:         96
        .size:           8
        .value_kind:     global_buffer
    .group_segment_fixed_size: 0
    .kernarg_segment_align: 8
    .kernarg_segment_size: 104
    .language:       OpenCL C
    .language_version:
      - 2
      - 0
    .max_flat_workgroup_size: 224
    .name:           fft_rtc_fwd_len2016_factors_2_2_2_2_2_3_3_7_wgs_224_tpt_112_halfLds_sp_op_CI_CI_unitstride_sbrr_dirReg
    .private_segment_fixed_size: 0
    .sgpr_count:     32
    .sgpr_spill_count: 0
    .symbol:         fft_rtc_fwd_len2016_factors_2_2_2_2_2_3_3_7_wgs_224_tpt_112_halfLds_sp_op_CI_CI_unitstride_sbrr_dirReg.kd
    .uniform_work_group_size: 1
    .uses_dynamic_stack: false
    .vgpr_count:     85
    .vgpr_spill_count: 0
    .wavefront_size: 64
amdhsa.target:   amdgcn-amd-amdhsa--gfx906
amdhsa.version:
  - 1
  - 2
...

	.end_amdgpu_metadata
